;; amdgpu-corpus repo=ROCm/rocFFT kind=compiled arch=gfx906 opt=O3
	.text
	.amdgcn_target "amdgcn-amd-amdhsa--gfx906"
	.amdhsa_code_object_version 6
	.protected	fft_rtc_fwd_len80_factors_2_2_4_5_wgs_125_tpt_5_dim3_sp_ip_CI_sbcc_twdbase8_3step_dirReg ; -- Begin function fft_rtc_fwd_len80_factors_2_2_4_5_wgs_125_tpt_5_dim3_sp_ip_CI_sbcc_twdbase8_3step_dirReg
	.globl	fft_rtc_fwd_len80_factors_2_2_4_5_wgs_125_tpt_5_dim3_sp_ip_CI_sbcc_twdbase8_3step_dirReg
	.p2align	8
	.type	fft_rtc_fwd_len80_factors_2_2_4_5_wgs_125_tpt_5_dim3_sp_ip_CI_sbcc_twdbase8_3step_dirReg,@function
fft_rtc_fwd_len80_factors_2_2_4_5_wgs_125_tpt_5_dim3_sp_ip_CI_sbcc_twdbase8_3step_dirReg: ; @fft_rtc_fwd_len80_factors_2_2_4_5_wgs_125_tpt_5_dim3_sp_ip_CI_sbcc_twdbase8_3step_dirReg
; %bb.0:
	s_load_dwordx4 s[0:3], s[4:5], 0x10
	s_mov_b32 s7, 0
	s_mov_b64 s[20:21], 0
	s_waitcnt lgkmcnt(0)
	s_load_dwordx2 s[10:11], s[0:1], 0x8
	s_waitcnt lgkmcnt(0)
	s_add_u32 s8, s10, -1
	s_addc_u32 s9, s11, -1
	s_add_u32 s12, 0, 0xd7093700
	s_addc_u32 s13, 0, 51
	s_mul_hi_u32 s15, s12, 0xffffffe7
	s_add_i32 s13, s13, 0xa3d7070
	s_sub_i32 s15, s15, s12
	s_mul_i32 s18, s13, 0xffffffe7
	s_mul_i32 s14, s12, 0xffffffe7
	s_add_i32 s15, s15, s18
	s_mul_hi_u32 s16, s13, s14
	s_mul_i32 s17, s13, s14
	s_mul_i32 s19, s12, s15
	s_mul_hi_u32 s14, s12, s14
	s_mul_hi_u32 s18, s12, s15
	s_add_u32 s14, s14, s19
	s_addc_u32 s18, 0, s18
	s_add_u32 s14, s14, s17
	s_mul_hi_u32 s19, s13, s15
	s_addc_u32 s14, s18, s16
	s_addc_u32 s16, s19, 0
	s_mul_i32 s15, s13, s15
	s_add_u32 s14, s14, s15
	v_mov_b32_e32 v1, s14
	s_addc_u32 s15, 0, s16
	v_add_co_u32_e32 v1, vcc, s12, v1
	s_cmp_lg_u64 vcc, 0
	s_addc_u32 s12, s13, s15
	v_readfirstlane_b32 s15, v1
	s_mul_i32 s14, s8, s12
	s_mul_hi_u32 s16, s8, s15
	s_mul_hi_u32 s13, s8, s12
	s_add_u32 s14, s16, s14
	s_addc_u32 s13, 0, s13
	s_mul_hi_u32 s17, s9, s15
	s_mul_i32 s15, s9, s15
	s_add_u32 s14, s14, s15
	s_mul_hi_u32 s16, s9, s12
	s_addc_u32 s13, s13, s17
	s_addc_u32 s14, s16, 0
	s_mul_i32 s12, s9, s12
	s_add_u32 s12, s13, s12
	s_addc_u32 s13, 0, s14
	s_add_u32 s14, s12, 1
	s_addc_u32 s15, s13, 0
	s_add_u32 s16, s12, 2
	s_mul_i32 s18, s13, 25
	s_mul_hi_u32 s19, s12, 25
	s_addc_u32 s17, s13, 0
	s_add_i32 s19, s19, s18
	s_mul_i32 s18, s12, 25
	v_mov_b32_e32 v1, s18
	v_sub_co_u32_e32 v1, vcc, s8, v1
	s_cmp_lg_u64 vcc, 0
	s_subb_u32 s8, s9, s19
	v_subrev_co_u32_e32 v2, vcc, 25, v1
	s_cmp_lg_u64 vcc, 0
	s_subb_u32 s9, s8, 0
	v_readfirstlane_b32 s18, v2
	s_cmp_gt_u32 s18, 24
	s_cselect_b32 s18, -1, 0
	s_cmp_eq_u32 s9, 0
	s_cselect_b32 s9, s18, -1
	s_cmp_lg_u32 s9, 0
	s_cselect_b32 s9, s16, s14
	s_cselect_b32 s14, s17, s15
	v_readfirstlane_b32 s15, v1
	s_cmp_gt_u32 s15, 24
	s_cselect_b32 s15, -1, 0
	s_cmp_eq_u32 s8, 0
	s_cselect_b32 s8, s15, -1
	s_cmp_lg_u32 s8, 0
	s_cselect_b32 s9, s9, s12
	s_cselect_b32 s8, s14, s13
	s_add_u32 s18, s9, 1
	s_addc_u32 s19, s8, 0
	v_mov_b32_e32 v1, s18
	v_mov_b32_e32 v2, s19
	v_cmp_lt_u64_e32 vcc, s[6:7], v[1:2]
	s_cbranch_vccnz .LBB0_2
; %bb.1:
	v_cvt_f32_u32_e32 v1, s18
	s_sub_i32 s8, 0, s18
	s_mov_b32 s21, s7
	v_rcp_iflag_f32_e32 v1, v1
	v_mul_f32_e32 v1, 0x4f7ffffe, v1
	v_cvt_u32_f32_e32 v1, v1
	v_readfirstlane_b32 s9, v1
	s_mul_i32 s8, s8, s9
	s_mul_hi_u32 s8, s9, s8
	s_add_i32 s9, s9, s8
	s_mul_hi_u32 s8, s6, s9
	s_mul_i32 s12, s8, s18
	s_sub_i32 s12, s6, s12
	s_add_i32 s9, s8, 1
	s_sub_i32 s13, s12, s18
	s_cmp_ge_u32 s12, s18
	s_cselect_b32 s8, s9, s8
	s_cselect_b32 s12, s13, s12
	s_add_i32 s9, s8, 1
	s_cmp_ge_u32 s12, s18
	s_cselect_b32 s20, s9, s8
.LBB0_2:
	s_load_dwordx2 s[8:9], s[0:1], 0x10
	s_load_dwordx2 s[12:13], s[2:3], 0x8
	s_mov_b64 s[0:1], s[20:21]
	s_waitcnt lgkmcnt(0)
	v_mov_b32_e32 v1, s8
	v_mov_b32_e32 v2, s9
	v_cmp_lt_u64_e32 vcc, s[20:21], v[1:2]
	s_cbranch_vccnz .LBB0_4
; %bb.3:
	v_cvt_f32_u32_e32 v1, s8
	s_sub_i32 s0, 0, s8
	v_rcp_iflag_f32_e32 v1, v1
	v_mul_f32_e32 v1, 0x4f7ffffe, v1
	v_cvt_u32_f32_e32 v1, v1
	v_readfirstlane_b32 s1, v1
	s_mul_i32 s0, s0, s1
	s_mul_hi_u32 s0, s1, s0
	s_add_i32 s1, s1, s0
	s_mul_hi_u32 s0, s20, s1
	s_mul_i32 s0, s0, s8
	s_sub_i32 s0, s20, s0
	s_sub_i32 s1, s0, s8
	s_cmp_ge_u32 s0, s8
	s_cselect_b32 s0, s1, s0
	s_sub_i32 s1, s0, s8
	s_cmp_ge_u32 s0, s8
	s_cselect_b32 s0, s1, s0
.LBB0_4:
	s_mul_i32 s1, s8, s19
	s_mul_hi_u32 s16, s8, s18
	s_add_i32 s1, s16, s1
	s_mul_i32 s9, s9, s18
	s_mul_i32 s16, s8, s18
	s_load_dwordx2 s[14:15], s[4:5], 0x50
	s_add_i32 s17, s1, s9
	s_load_dwordx2 s[8:9], s[2:3], 0x0
	s_load_dwordx2 s[22:23], s[2:3], 0x10
	v_mov_b32_e32 v1, s16
	v_mov_b32_e32 v2, s17
	v_cmp_lt_u64_e32 vcc, s[6:7], v[1:2]
	s_mov_b64 s[24:25], 0
	s_cbranch_vccnz .LBB0_6
; %bb.5:
	v_cvt_f32_u32_e32 v1, s16
	s_sub_i32 s1, 0, s16
	v_rcp_iflag_f32_e32 v1, v1
	v_mul_f32_e32 v1, 0x4f7ffffe, v1
	v_cvt_u32_f32_e32 v1, v1
	v_readfirstlane_b32 s7, v1
	s_mul_i32 s1, s1, s7
	s_mul_hi_u32 s1, s7, s1
	s_add_i32 s7, s7, s1
	s_mul_hi_u32 s1, s6, s7
	s_mul_i32 s17, s1, s16
	s_sub_i32 s17, s6, s17
	s_add_i32 s7, s1, 1
	s_sub_i32 s21, s17, s16
	s_cmp_ge_u32 s17, s16
	s_cselect_b32 s1, s7, s1
	s_cselect_b32 s17, s21, s17
	s_add_i32 s7, s1, 1
	s_cmp_ge_u32 s17, s16
	s_cselect_b32 s24, s7, s1
.LBB0_6:
	s_mul_i32 s1, s20, s19
	s_mul_hi_u32 s7, s20, s18
	s_add_i32 s7, s7, s1
	s_mul_i32 s1, s20, s18
	s_sub_u32 s1, s6, s1
	s_subb_u32 s6, 0, s7
	s_mul_i32 s6, s6, 25
	s_mul_hi_u32 s7, s1, 25
	s_add_i32 s18, s7, s6
	s_mul_i32 s1, s1, 25
	s_load_dwordx2 s[2:3], s[2:3], 0x18
	s_mul_i32 s6, s12, s18
	s_mul_hi_u32 s7, s12, s1
	s_add_i32 s6, s7, s6
	s_mul_i32 s7, s13, s1
	s_waitcnt lgkmcnt(0)
	s_mul_i32 s19, s23, s0
	s_mul_hi_u32 s20, s22, s0
	s_add_i32 s6, s6, s7
	s_mul_i32 s7, s12, s1
	s_add_i32 s20, s20, s19
	s_mul_i32 s0, s22, s0
	s_add_u32 s0, s0, s7
	v_mul_u32_u24_e32 v1, 0xa3e, v0
	s_addc_u32 s7, s20, s6
	s_mul_i32 s3, s3, s24
	s_mul_hi_u32 s6, s2, s24
	v_lshrrev_b32_e32 v49, 16, v1
	s_add_i32 s3, s6, s3
	s_mul_i32 s2, s2, s24
	v_mul_lo_u16_e32 v1, 25, v49
	s_add_u32 s6, s2, s0
	v_sub_u16_e32 v50, v0, v1
	s_addc_u32 s7, s3, s7
	v_mov_b32_e32 v1, s18
	v_add_co_u32_e32 v25, vcc, s1, v50
	s_load_dwordx2 s[16:17], s[4:5], 0x0
	v_addc_co_u32_e32 v26, vcc, 0, v1, vcc
	s_add_u32 s0, s1, 25
	v_mov_b32_e32 v1, s10
	s_addc_u32 s1, s18, 0
	v_mov_b32_e32 v2, s11
	v_cmp_gt_u64_e32 vcc, s[0:1], v[1:2]
	v_cmp_le_u64_e64 s[0:1], s[0:1], v[1:2]
	s_and_b64 vcc, exec, vcc
	v_add_u32_e32 v35, 5, v49
	v_add_u32_e32 v36, 10, v49
	v_add_u32_e32 v37, 15, v49
	v_add_u32_e32 v38, 20, v49
	v_add_u32_e32 v39, 25, v49
	v_add_u32_e32 v40, 30, v49
	v_add_u32_e32 v41, 35, v49
	s_cbranch_vccnz .LBB0_8
; %bb.7:
	v_mad_u64_u32 v[1:2], s[2:3], s12, v50, 0
	v_mad_u64_u32 v[3:4], s[2:3], s8, v49, 0
	v_or_b32_e32 v8, 40, v49
	v_add_u32_e32 v52, 5, v49
	v_mad_u64_u32 v[5:6], s[2:3], s13, v50, v[2:3]
	v_mov_b32_e32 v2, v4
	v_mad_u64_u32 v[6:7], s[2:3], s9, v49, v[2:3]
	s_lshl_b64 s[2:3], s[6:7], 3
	s_add_u32 s18, s14, s2
	s_addc_u32 s2, s15, s3
	v_mov_b32_e32 v2, v5
	v_mov_b32_e32 v4, v6
	;; [unrolled: 1-line block ×3, first 2 shown]
	v_mad_u64_u32 v[5:6], s[2:3], s8, v8, 0
	v_lshlrev_b64 v[1:2], 3, v[1:2]
	v_add_u32_e32 v51, 10, v49
	v_add_co_u32_e32 v9, vcc, s18, v1
	v_addc_co_u32_e32 v10, vcc, v7, v2, vcc
	v_lshlrev_b64 v[1:2], 3, v[3:4]
	v_mov_b32_e32 v3, v6
	v_mad_u64_u32 v[3:4], s[2:3], s9, v8, v[3:4]
	v_mad_u64_u32 v[7:8], s[2:3], s8, v52, 0
	v_add_co_u32_e32 v33, vcc, v9, v1
	v_mov_b32_e32 v6, v3
	v_mov_b32_e32 v3, v8
	v_addc_co_u32_e32 v34, vcc, v10, v2, vcc
	v_lshlrev_b64 v[1:2], 3, v[5:6]
	v_mad_u64_u32 v[3:4], s[2:3], s9, v52, v[3:4]
	v_add_u32_e32 v6, 45, v49
	v_mad_u64_u32 v[4:5], s[2:3], s8, v6, 0
	v_mov_b32_e32 v8, v3
	v_add_co_u32_e32 v46, vcc, v9, v1
	v_mov_b32_e32 v3, v5
	v_mad_u64_u32 v[5:6], s[2:3], s9, v6, v[3:4]
	v_addc_co_u32_e32 v47, vcc, v10, v2, vcc
	v_lshlrev_b64 v[1:2], 3, v[7:8]
	v_mad_u64_u32 v[6:7], s[2:3], s8, v51, 0
	v_add_co_u32_e32 v54, vcc, v9, v1
	v_mov_b32_e32 v3, v7
	v_addc_co_u32_e32 v55, vcc, v10, v2, vcc
	v_lshlrev_b64 v[1:2], 3, v[4:5]
	v_mad_u64_u32 v[3:4], s[2:3], s9, v51, v[3:4]
	v_add_u32_e32 v8, 50, v49
	v_mad_u64_u32 v[4:5], s[2:3], s8, v8, 0
	v_add_co_u32_e32 v56, vcc, v9, v1
	v_mov_b32_e32 v7, v3
	v_mov_b32_e32 v3, v5
	v_addc_co_u32_e32 v57, vcc, v10, v2, vcc
	v_lshlrev_b64 v[1:2], 3, v[6:7]
	v_mad_u64_u32 v[5:6], s[2:3], s9, v8, v[3:4]
	v_add_u32_e32 v53, 15, v49
	v_mad_u64_u32 v[6:7], s[2:3], s8, v53, 0
	v_add_co_u32_e32 v58, vcc, v9, v1
	v_mov_b32_e32 v3, v7
	v_addc_co_u32_e32 v59, vcc, v10, v2, vcc
	v_lshlrev_b64 v[1:2], 3, v[4:5]
	v_mad_u64_u32 v[3:4], s[2:3], s9, v53, v[3:4]
	v_add_u32_e32 v8, 55, v49
	v_mad_u64_u32 v[4:5], s[2:3], s8, v8, 0
	v_add_co_u32_e32 v60, vcc, v9, v1
	v_mov_b32_e32 v7, v3
	v_mov_b32_e32 v3, v5
	v_addc_co_u32_e32 v61, vcc, v10, v2, vcc
	v_lshlrev_b64 v[1:2], 3, v[6:7]
	v_mad_u64_u32 v[5:6], s[2:3], s9, v8, v[3:4]
	v_add_u32_e32 v42, 20, v49
	;; [unrolled: 15-line block ×5, first 2 shown]
	v_mad_u64_u32 v[6:7], s[2:3], s8, v45, 0
	v_add_co_u32_e32 v74, vcc, v9, v1
	v_mov_b32_e32 v3, v7
	v_addc_co_u32_e32 v75, vcc, v10, v2, vcc
	v_lshlrev_b64 v[1:2], 3, v[4:5]
	v_mad_u64_u32 v[3:4], s[2:3], s9, v45, v[3:4]
	v_add_u32_e32 v8, 0x4b, v49
	v_mad_u64_u32 v[4:5], s[2:3], s8, v8, 0
	v_add_co_u32_e32 v76, vcc, v9, v1
	v_mov_b32_e32 v7, v3
	v_mov_b32_e32 v3, v5
	v_addc_co_u32_e32 v77, vcc, v10, v2, vcc
	v_lshlrev_b64 v[1:2], 3, v[6:7]
	v_mad_u64_u32 v[5:6], s[2:3], s9, v8, v[3:4]
	v_add_co_u32_e32 v78, vcc, v9, v1
	v_addc_co_u32_e32 v79, vcc, v10, v2, vcc
	v_lshlrev_b64 v[1:2], 3, v[4:5]
	v_add_co_u32_e32 v80, vcc, v9, v1
	v_addc_co_u32_e32 v81, vcc, v10, v2, vcc
	global_load_dwordx2 v[5:6], v[33:34], off
	global_load_dwordx2 v[7:8], v[46:47], off
	;; [unrolled: 1-line block ×15, first 2 shown]
                                        ; kill: killed $vgpr74 killed $vgpr75
                                        ; kill: killed $vgpr46 killed $vgpr47
                                        ; kill: killed $vgpr68 killed $vgpr69
                                        ; kill: killed $vgpr54 killed $vgpr55
                                        ; kill: killed $vgpr70 killed $vgpr71
                                        ; kill: killed $vgpr64 killed $vgpr65
                                        ; kill: killed $vgpr33 killed $vgpr34
                                        ; kill: killed $vgpr66 killed $vgpr67
                                        ; kill: killed $vgpr60 killed $vgpr61
                                        ; kill: killed $vgpr76 killed $vgpr77
                                        ; kill: killed $vgpr62 killed $vgpr63
                                        ; kill: killed $vgpr78 killed $vgpr79
                                        ; kill: killed $vgpr56 killed $vgpr57
                                        ; kill: killed $vgpr72 killed $vgpr73
                                        ; kill: killed $vgpr58 killed $vgpr59
	global_load_dwordx2 v[33:34], v[80:81], off
	s_cbranch_execz .LBB0_9
	s_branch .LBB0_14
.LBB0_8:
                                        ; implicit-def: $vgpr1
                                        ; implicit-def: $vgpr9
                                        ; implicit-def: $vgpr17
                                        ; implicit-def: $vgpr33
                                        ; implicit-def: $vgpr27
                                        ; implicit-def: $vgpr31
                                        ; implicit-def: $vgpr29
                                        ; implicit-def: $vgpr19
                                        ; implicit-def: $vgpr23
                                        ; implicit-def: $vgpr21
                                        ; implicit-def: $vgpr11
                                        ; implicit-def: $vgpr52
                                        ; implicit-def: $vgpr51
                                        ; implicit-def: $vgpr53
                                        ; implicit-def: $vgpr42
                                        ; implicit-def: $vgpr43
                                        ; implicit-def: $vgpr44
                                        ; implicit-def: $vgpr45
                                        ; implicit-def: $vgpr15
                                        ; implicit-def: $vgpr13
                                        ; implicit-def: $vgpr3
                                        ; implicit-def: $vgpr7
                                        ; implicit-def: $vgpr5
.LBB0_9:
	v_cmp_le_u64_e32 vcc, s[10:11], v[25:26]
                                        ; implicit-def: $vgpr52
                                        ; implicit-def: $vgpr51
                                        ; implicit-def: $vgpr53
                                        ; implicit-def: $vgpr42
                                        ; implicit-def: $vgpr43
                                        ; implicit-def: $vgpr44
                                        ; implicit-def: $vgpr45
	s_and_saveexec_b64 s[2:3], vcc
	s_xor_b64 s[2:3], exec, s[2:3]
; %bb.10:
	v_add_u32_e32 v52, 5, v49
	v_add_u32_e32 v51, 10, v49
	;; [unrolled: 1-line block ×7, first 2 shown]
                                        ; implicit-def: $vgpr35
                                        ; implicit-def: $vgpr36
                                        ; implicit-def: $vgpr37
                                        ; implicit-def: $vgpr38
                                        ; implicit-def: $vgpr39
                                        ; implicit-def: $vgpr40
                                        ; implicit-def: $vgpr41
; %bb.11:
	s_or_saveexec_b64 s[2:3], s[2:3]
                                        ; implicit-def: $vgpr1
                                        ; implicit-def: $vgpr9
                                        ; implicit-def: $vgpr17
                                        ; implicit-def: $vgpr33
                                        ; implicit-def: $vgpr27
                                        ; implicit-def: $vgpr31
                                        ; implicit-def: $vgpr29
                                        ; implicit-def: $vgpr19
                                        ; implicit-def: $vgpr23
                                        ; implicit-def: $vgpr21
                                        ; implicit-def: $vgpr11
                                        ; implicit-def: $vgpr15
                                        ; implicit-def: $vgpr13
                                        ; implicit-def: $vgpr3
                                        ; implicit-def: $vgpr7
                                        ; implicit-def: $vgpr5
	s_xor_b64 exec, exec, s[2:3]
	s_cbranch_execz .LBB0_13
; %bb.12:
	s_waitcnt vmcnt(12)
	v_mad_u64_u32 v[1:2], s[18:19], s12, v50, 0
	v_mad_u64_u32 v[3:4], s[18:19], s8, v49, 0
	v_or_b32_e32 v8, 40, v49
	s_waitcnt vmcnt(7)
	v_add_u32_e32 v22, 50, v49
	v_mad_u64_u32 v[5:6], s[18:19], s13, v50, v[2:3]
	v_mov_b32_e32 v2, v4
	v_mad_u64_u32 v[6:7], s[18:19], s9, v49, v[2:3]
	s_lshl_b64 s[18:19], s[6:7], 3
	s_add_u32 s20, s14, s18
	s_addc_u32 s18, s15, s19
	v_mov_b32_e32 v2, v5
	v_mov_b32_e32 v4, v6
	;; [unrolled: 1-line block ×3, first 2 shown]
	v_mad_u64_u32 v[5:6], s[18:19], s8, v8, 0
	v_lshlrev_b64 v[1:2], 3, v[1:2]
	v_mad_u64_u32 v[15:16], s[18:19], s8, v36, 0
	v_add_co_u32_e32 v48, vcc, s20, v1
	v_addc_co_u32_e32 v52, vcc, v7, v2, vcc
	v_lshlrev_b64 v[1:2], 3, v[3:4]
	v_mov_b32_e32 v3, v6
	v_mad_u64_u32 v[3:4], s[18:19], s9, v8, v[3:4]
	v_mad_u64_u32 v[7:8], s[18:19], s8, v35, 0
	v_add_co_u32_e32 v9, vcc, v48, v1
	v_mov_b32_e32 v6, v3
	v_mov_b32_e32 v3, v8
	v_addc_co_u32_e32 v10, vcc, v52, v2, vcc
	v_lshlrev_b64 v[1:2], 3, v[5:6]
	v_mad_u64_u32 v[3:4], s[18:19], s9, v35, v[3:4]
	v_add_u32_e32 v6, 45, v49
	v_mad_u64_u32 v[4:5], s[18:19], s8, v6, 0
	v_mov_b32_e32 v8, v3
	v_add_co_u32_e32 v11, vcc, v48, v1
	v_mov_b32_e32 v3, v5
	v_mad_u64_u32 v[5:6], s[18:19], s9, v6, v[3:4]
	v_addc_co_u32_e32 v12, vcc, v52, v2, vcc
	v_lshlrev_b64 v[1:2], 3, v[7:8]
	s_waitcnt vmcnt(6)
	v_mad_u64_u32 v[23:24], s[18:19], s8, v38, 0
	v_add_co_u32_e32 v13, vcc, v48, v1
	v_addc_co_u32_e32 v14, vcc, v52, v2, vcc
	v_lshlrev_b64 v[1:2], 3, v[4:5]
	s_waitcnt vmcnt(2)
	v_add_u32_e32 v32, 60, v49
	v_add_co_u32_e32 v17, vcc, v48, v1
	v_mov_b32_e32 v1, v16
	v_mad_u64_u32 v[19:20], s[18:19], s9, v36, v[1:2]
	v_mad_u64_u32 v[20:21], s[18:19], s8, v22, 0
	v_addc_co_u32_e32 v18, vcc, v52, v2, vcc
	global_load_dwordx2 v[5:6], v[9:10], off
	global_load_dwordx2 v[7:8], v[11:12], off
	;; [unrolled: 1-line block ×4, first 2 shown]
	v_mov_b32_e32 v11, v21
	v_mad_u64_u32 v[11:12], s[18:19], s9, v22, v[11:12]
	v_mad_u64_u32 v[12:13], s[18:19], s8, v37, 0
	v_mov_b32_e32 v16, v19
	v_mov_b32_e32 v21, v11
	;; [unrolled: 1-line block ×3, first 2 shown]
	v_lshlrev_b64 v[9:10], 3, v[15:16]
	v_mad_u64_u32 v[13:14], s[18:19], s9, v37, v[11:12]
	v_add_u32_e32 v16, 55, v49
	v_mad_u64_u32 v[14:15], s[18:19], s8, v16, 0
	v_add_co_u32_e32 v17, vcc, v48, v9
	v_addc_co_u32_e32 v18, vcc, v52, v10, vcc
	v_lshlrev_b64 v[9:10], 3, v[20:21]
	v_mov_b32_e32 v11, v15
	v_add_co_u32_e32 v19, vcc, v48, v9
	v_addc_co_u32_e32 v20, vcc, v52, v10, vcc
	v_lshlrev_b64 v[9:10], 3, v[12:13]
	v_mad_u64_u32 v[11:12], s[18:19], s9, v16, v[11:12]
	v_add_co_u32_e32 v21, vcc, v48, v9
	v_mov_b32_e32 v15, v11
	v_addc_co_u32_e32 v22, vcc, v52, v10, vcc
	v_lshlrev_b64 v[9:10], 3, v[14:15]
	s_waitcnt vmcnt(4)
	v_mad_u64_u32 v[33:34], s[18:19], s8, v40, 0
	v_add_co_u32_e32 v27, vcc, v48, v9
	v_mov_b32_e32 v9, v24
	v_mad_u64_u32 v[29:30], s[18:19], s9, v38, v[9:10]
	v_mad_u64_u32 v[30:31], s[18:19], s8, v32, 0
	v_addc_co_u32_e32 v28, vcc, v52, v10, vcc
	global_load_dwordx2 v[13:14], v[17:18], off
	global_load_dwordx2 v[15:16], v[19:20], off
	;; [unrolled: 1-line block ×4, first 2 shown]
	v_mov_b32_e32 v19, v31
	v_mad_u64_u32 v[19:20], s[18:19], s9, v32, v[19:20]
	v_mad_u64_u32 v[20:21], s[18:19], s8, v39, 0
	v_mov_b32_e32 v24, v29
	v_mov_b32_e32 v31, v19
	;; [unrolled: 1-line block ×3, first 2 shown]
	v_lshlrev_b64 v[17:18], 3, v[23:24]
	v_mad_u64_u32 v[21:22], s[18:19], s9, v39, v[19:20]
	v_add_u32_e32 v24, 0x41, v49
	v_mad_u64_u32 v[22:23], s[18:19], s8, v24, 0
	v_add_co_u32_e32 v27, vcc, v48, v17
	v_addc_co_u32_e32 v28, vcc, v52, v18, vcc
	v_lshlrev_b64 v[17:18], 3, v[30:31]
	v_mov_b32_e32 v19, v23
	v_add_co_u32_e32 v29, vcc, v48, v17
	v_addc_co_u32_e32 v30, vcc, v52, v18, vcc
	v_lshlrev_b64 v[17:18], 3, v[20:21]
	v_mad_u64_u32 v[19:20], s[18:19], s9, v24, v[19:20]
	v_add_co_u32_e32 v31, vcc, v48, v17
	v_mov_b32_e32 v23, v19
	v_addc_co_u32_e32 v32, vcc, v52, v18, vcc
	v_lshlrev_b64 v[17:18], 3, v[22:23]
	v_add_u32_e32 v47, 0x46, v49
	v_add_co_u32_e32 v42, vcc, v48, v17
	v_mov_b32_e32 v17, v34
	v_mad_u64_u32 v[44:45], s[18:19], s9, v40, v[17:18]
	v_mad_u64_u32 v[45:46], s[18:19], s8, v47, 0
	v_addc_co_u32_e32 v43, vcc, v52, v18, vcc
	global_load_dwordx2 v[21:22], v[27:28], off
	global_load_dwordx2 v[23:24], v[29:30], off
	;; [unrolled: 1-line block ×4, first 2 shown]
	v_mov_b32_e32 v29, v46
	v_mad_u64_u32 v[29:30], s[18:19], s9, v47, v[29:30]
	v_mad_u64_u32 v[30:31], s[18:19], s8, v41, 0
	v_mov_b32_e32 v34, v44
	v_mov_b32_e32 v46, v29
	;; [unrolled: 1-line block ×3, first 2 shown]
	v_lshlrev_b64 v[27:28], 3, v[33:34]
	v_mad_u64_u32 v[31:32], s[18:19], s9, v41, v[29:30]
	v_add_u32_e32 v34, 0x4b, v49
	v_mad_u64_u32 v[32:33], s[18:19], s8, v34, 0
	v_add_co_u32_e32 v42, vcc, v48, v27
	v_addc_co_u32_e32 v43, vcc, v52, v28, vcc
	v_lshlrev_b64 v[27:28], 3, v[45:46]
	v_mov_b32_e32 v29, v33
	v_add_co_u32_e32 v44, vcc, v48, v27
	v_addc_co_u32_e32 v45, vcc, v52, v28, vcc
	v_lshlrev_b64 v[27:28], 3, v[30:31]
	v_mad_u64_u32 v[29:30], s[18:19], s9, v34, v[29:30]
	v_add_co_u32_e32 v46, vcc, v48, v27
	v_mov_b32_e32 v33, v29
	v_addc_co_u32_e32 v47, vcc, v52, v28, vcc
	v_lshlrev_b64 v[27:28], 3, v[32:33]
	v_mov_b32_e32 v53, v37
	v_add_co_u32_e32 v51, vcc, v48, v27
	v_addc_co_u32_e32 v52, vcc, v52, v28, vcc
	global_load_dwordx2 v[29:30], v[42:43], off
	global_load_dwordx2 v[31:32], v[44:45], off
	;; [unrolled: 1-line block ×4, first 2 shown]
	v_mov_b32_e32 v52, v35
	v_mov_b32_e32 v51, v36
	;; [unrolled: 1-line block ×6, first 2 shown]
.LBB0_13:
	s_or_b64 exec, exec, s[2:3]
.LBB0_14:
	s_waitcnt vmcnt(12)
	v_sub_f32_e32 v35, v3, v1
	v_sub_f32_e32 v36, v4, v2
	;; [unrolled: 1-line block ×4, first 2 shown]
	v_fma_f32 v2, v3, 2.0, -v35
	v_fma_f32 v3, v4, 2.0, -v36
	v_mul_u32_u24_e32 v4, 0x190, v49
	v_lshlrev_b32_e32 v1, 3, v50
	v_fma_f32 v5, v5, 2.0, -v7
	v_fma_f32 v6, v6, 2.0, -v8
	v_add3_u32 v4, 0, v4, v1
	ds_write2_b64 v4, v[5:6], v[7:8] offset1:25
	v_mul_i32_i24_e32 v4, 0x190, v52
	v_add3_u32 v4, 0, v4, v1
	s_waitcnt vmcnt(10)
	v_sub_f32_e32 v15, v13, v15
	v_sub_f32_e32 v16, v14, v16
	ds_write2_b64 v4, v[2:3], v[35:36] offset1:25
	v_mul_i32_i24_e32 v2, 0x190, v51
	v_fma_f32 v13, v13, 2.0, -v15
	v_fma_f32 v14, v14, 2.0, -v16
	v_add3_u32 v2, 0, v2, v1
	s_waitcnt vmcnt(8)
	v_sub_f32_e32 v9, v11, v9
	v_sub_f32_e32 v10, v12, v10
	ds_write2_b64 v2, v[13:14], v[15:16] offset1:25
	v_mul_i32_i24_e32 v2, 0x190, v53
	v_fma_f32 v11, v11, 2.0, -v9
	v_fma_f32 v12, v12, 2.0, -v10
	;; [unrolled: 8-line block ×6, first 2 shown]
	v_add3_u32 v2, 0, v2, v1
	v_and_b32_e32 v24, 1, v52
	ds_write2_b64 v2, v[27:28], v[33:34] offset1:25
	v_lshlrev_b32_e32 v2, 3, v24
	v_and_b32_e32 v39, 1, v53
	s_waitcnt lgkmcnt(0)
	s_barrier
	v_and_b32_e32 v38, 1, v49
	v_lshlrev_b32_e32 v4, 3, v39
	v_and_b32_e32 v40, 1, v43
	global_load_dwordx2 v[14:15], v2, s[16:17]
	v_lshlrev_b32_e32 v3, 3, v38
	v_lshlrev_b32_e32 v2, 3, v40
	global_load_dwordx2 v[16:17], v4, s[16:17]
	global_load_dwordx2 v[18:19], v2, s[16:17]
	;; [unrolled: 1-line block ×3, first 2 shown]
	v_and_b32_e32 v41, 1, v45
	v_lshlrev_b32_e32 v2, 3, v41
	global_load_dwordx2 v[22:23], v2, s[16:17]
	v_mul_u32_u24_e32 v2, 0xc8, v49
	v_add3_u32 v46, 0, v2, v1
	v_add_u32_e32 v47, 0x1c00, v46
	ds_read2_b64 v[2:5], v47 offset0:104 offset1:229
	v_mul_i32_i24_e32 v6, 0xc8, v52
	v_add3_u32 v48, 0, v6, v1
	v_mul_i32_i24_e32 v6, 0xc8, v51
	v_add_u32_e32 v57, 0x2400, v46
	v_add3_u32 v56, 0, v6, v1
	ds_read2_b64 v[6:9], v57 offset0:98 offset1:223
	v_mul_i32_i24_e32 v10, 0xc8, v53
	v_add3_u32 v35, 0, v10, v1
	v_mul_i32_i24_e32 v10, 0xc8, v42
	v_add_u32_e32 v58, 0x2c00, v46
	ds_read_b64 v[27:28], v48
	ds_read_b64 v[29:30], v46 offset:15000
	ds_read_b64 v[31:32], v46
	ds_read_b64 v[33:34], v35
	v_add3_u32 v54, 0, v10, v1
	ds_read2_b32 v[36:37], v58 offset0:184 offset1:185
	v_mul_i32_i24_e32 v10, 0xc8, v43
	v_add_u32_e32 v59, 0x3000, v46
	v_add3_u32 v55, 0, v10, v1
	ds_read2_b64 v[10:13], v59 offset0:89 offset1:214
	s_movk_i32 s2, 0x3ffc
	s_waitcnt vmcnt(4) lgkmcnt(7)
	v_mul_f32_e32 v60, v15, v5
	v_fma_f32 v60, v14, v4, -v60
	v_mul_f32_e32 v61, v15, v4
	s_waitcnt vmcnt(1)
	v_mul_f32_e32 v4, v21, v3
	v_fmac_f32_e32 v61, v14, v5
	v_fma_f32 v14, v20, v2, -v4
	v_mul_f32_e32 v15, v21, v2
	v_mul_i32_i24_e32 v2, 0xc8, v44
	v_add3_u32 v62, 0, v2, v1
	s_waitcnt lgkmcnt(6)
	v_mul_f32_e32 v2, v21, v7
	v_fma_f32 v63, v20, v6, -v2
	v_mul_f32_e32 v2, v17, v9
	v_fma_f32 v64, v16, v8, -v2
	s_waitcnt lgkmcnt(1)
	v_mul_f32_e32 v2, v37, v21
	v_fma_f32 v67, v20, v36, -v2
	v_mul_f32_e32 v36, v21, v36
	s_waitcnt lgkmcnt(0)
	v_mul_f32_e32 v2, v11, v19
	v_fmac_f32_e32 v36, v37, v20
	v_fma_f32 v37, v10, v18, -v2
	v_mul_f32_e32 v68, v10, v19
	v_mul_i32_i24_e32 v10, 0xc8, v45
	v_mul_f32_e32 v65, v17, v8
	v_mul_f32_e32 v66, v21, v6
	v_fmac_f32_e32 v68, v11, v18
	v_mul_f32_e32 v2, v13, v21
	v_add3_u32 v10, 0, v10, v1
	s_waitcnt vmcnt(0)
	v_mul_f32_e32 v11, v30, v23
	v_fmac_f32_e32 v15, v20, v3
	v_fmac_f32_e32 v65, v16, v9
	;; [unrolled: 1-line block ×3, first 2 shown]
	v_fma_f32 v69, v12, v20, -v2
	ds_read_b64 v[2:3], v56
	ds_read_b64 v[4:5], v54
	;; [unrolled: 1-line block ×4, first 2 shown]
	v_fma_f32 v55, v29, v22, -v11
	ds_read_b64 v[10:11], v10
	v_mul_f32_e32 v62, v29, v23
	v_fmac_f32_e32 v62, v30, v22
	s_waitcnt lgkmcnt(3)
	v_sub_f32_e32 v30, v5, v36
	v_mul_f32_e32 v70, v12, v21
	s_waitcnt lgkmcnt(0)
	v_sub_f32_e32 v36, v10, v55
	v_lshlrev_b32_e32 v55, 1, v49
	v_and_or_b32 v55, v55, 12, v38
	v_fmac_f32_e32 v70, v13, v20
	v_sub_f32_e32 v12, v31, v14
	v_sub_f32_e32 v13, v32, v15
	v_mul_u32_u24_e32 v55, 0xc8, v55
	v_fma_f32 v14, v31, 2.0, -v12
	v_fma_f32 v15, v32, 2.0, -v13
	v_add3_u32 v55, 0, v55, v1
	s_barrier
	ds_write2_b64 v55, v[14:15], v[12:13] offset1:50
	v_lshlrev_b32_e32 v12, 1, v52
	v_and_or_b32 v12, v12, s2, v24
	v_sub_f32_e32 v16, v27, v60
	v_sub_f32_e32 v17, v28, v61
	v_mul_u32_u24_e32 v12, 0xc8, v12
	v_fma_f32 v18, v27, 2.0, -v16
	v_fma_f32 v19, v28, 2.0, -v17
	v_add3_u32 v12, 0, v12, v1
	ds_write2_b64 v12, v[18:19], v[16:17] offset1:50
	v_lshlrev_b32_e32 v12, 1, v51
	v_and_or_b32 v12, v12, s2, v38
	v_sub_f32_e32 v20, v2, v63
	v_sub_f32_e32 v21, v3, v66
	v_mul_u32_u24_e32 v12, 0xc8, v12
	v_fma_f32 v2, v2, 2.0, -v20
	v_fma_f32 v3, v3, 2.0, -v21
	v_add3_u32 v12, 0, v12, v1
	;; [unrolled: 9-line block ×3, first 2 shown]
	ds_write2_b64 v2, v[27:28], v[22:23] offset1:50
	v_lshlrev_b32_e32 v2, 1, v42
	v_and_or_b32 v2, v2, s2, v38
	v_sub_f32_e32 v29, v4, v67
	v_mul_u32_u24_e32 v2, 0xc8, v2
	v_fma_f32 v4, v4, 2.0, -v29
	v_fma_f32 v5, v5, 2.0, -v30
	v_add3_u32 v2, 0, v2, v1
	ds_write2_b64 v2, v[4:5], v[29:30] offset1:50
	v_lshlrev_b32_e32 v2, 1, v43
	v_and_or_b32 v2, v2, s2, v40
	v_sub_f32_e32 v31, v6, v37
	v_sub_f32_e32 v32, v7, v68
	v_mul_u32_u24_e32 v2, 0xc8, v2
	v_fma_f32 v6, v6, 2.0, -v31
	v_fma_f32 v7, v7, 2.0, -v32
	v_add3_u32 v2, 0, v2, v1
	ds_write2_b64 v2, v[6:7], v[31:32] offset1:50
	v_lshlrev_b32_e32 v2, 1, v44
	v_and_or_b32 v2, v2, s2, v38
	v_sub_f32_e32 v33, v8, v69
	v_sub_f32_e32 v34, v9, v70
	v_mul_u32_u24_e32 v2, 0xc8, v2
	v_fma_f32 v8, v8, 2.0, -v33
	v_fma_f32 v9, v9, 2.0, -v34
	v_add3_u32 v2, 0, v2, v1
	ds_write2_b64 v2, v[8:9], v[33:34] offset1:50
	v_lshlrev_b32_e32 v2, 1, v45
	v_and_or_b32 v2, v2, s2, v41
	v_sub_f32_e32 v37, v11, v62
	v_mul_u32_u24_e32 v2, 0xc8, v2
	v_fma_f32 v10, v10, 2.0, -v36
	v_fma_f32 v11, v11, 2.0, -v37
	v_add3_u32 v2, 0, v2, v1
	v_and_b32_e32 v24, 3, v52
	ds_write2_b64 v2, v[10:11], v[36:37] offset1:50
	v_mul_u32_u24_e32 v2, 3, v24
	v_lshlrev_b32_e32 v10, 3, v2
	s_waitcnt lgkmcnt(0)
	s_barrier
	global_load_dwordx4 v[2:5], v10, s[16:17] offset:16
	v_and_b32_e32 v42, 3, v51
	v_mul_u32_u24_e32 v6, 3, v42
	v_lshlrev_b32_e32 v11, 3, v6
	global_load_dwordx4 v[6:9], v11, s[16:17] offset:16
	global_load_dwordx2 v[22:23], v10, s[16:17] offset:32
	global_load_dwordx2 v[36:37], v11, s[16:17] offset:32
	v_and_b32_e32 v10, 3, v49
	v_mul_u32_u24_e32 v10, 3, v10
	v_lshlrev_b32_e32 v18, 3, v10
	global_load_dwordx4 v[10:13], v18, s[16:17] offset:16
	v_and_b32_e32 v45, 3, v53
	v_mul_u32_u24_e32 v14, 3, v45
	v_lshlrev_b32_e32 v19, 3, v14
	global_load_dwordx4 v[14:17], v19, s[16:17] offset:16
	global_load_dwordx2 v[38:39], v18, s[16:17] offset:32
	global_load_dwordx2 v[40:41], v19, s[16:17] offset:32
	v_add_u32_e32 v27, 0x1800, v46
	v_add_u32_e32 v18, 0x1000, v46
	;; [unrolled: 1-line block ×3, first 2 shown]
	ds_read2_b64 v[18:21], v18 offset0:113 offset1:238
	ds_read2_b64 v[27:30], v27 offset0:107 offset1:232
	;; [unrolled: 1-line block ×3, first 2 shown]
	v_add_u32_e32 v43, 0x2800, v46
	s_movk_i32 s2, 0x7ff0
	s_waitcnt vmcnt(7) lgkmcnt(2)
	v_mul_f32_e32 v44, v3, v19
	v_mul_f32_e32 v55, v3, v18
	v_fma_f32 v44, v2, v18, -v44
	v_fmac_f32_e32 v55, v2, v19
	s_waitcnt lgkmcnt(0)
	v_mul_f32_e32 v2, v32, v5
	v_fma_f32 v60, v31, v4, -v2
	v_mul_f32_e32 v31, v31, v5
	s_waitcnt vmcnt(6)
	v_mul_f32_e32 v2, v21, v7
	v_fmac_f32_e32 v31, v32, v4
	v_fma_f32 v32, v20, v6, -v2
	v_mul_f32_e32 v61, v20, v7
	ds_read2_b64 v[2:5], v59 offset0:89 offset1:214
	v_fmac_f32_e32 v61, v21, v6
	v_mul_f32_e32 v6, v34, v9
	v_fma_f32 v59, v33, v8, -v6
	v_mul_f32_e32 v33, v33, v9
	v_fmac_f32_e32 v33, v34, v8
	ds_read2_b64 v[6:9], v43 offset0:95 offset1:220
	ds_read_b64 v[18:19], v54
	ds_read_b64 v[20:21], v56
	s_waitcnt vmcnt(5) lgkmcnt(3)
	v_mul_f32_e32 v34, v3, v23
	v_fma_f32 v34, v2, v22, -v34
	v_mul_f32_e32 v23, v2, v23
	s_waitcnt vmcnt(4)
	v_mul_f32_e32 v2, v5, v37
	v_fmac_f32_e32 v23, v3, v22
	v_fma_f32 v22, v4, v36, -v2
	v_mul_f32_e32 v37, v4, v37
	s_waitcnt vmcnt(3) lgkmcnt(1)
	v_mul_f32_e32 v2, v11, v19
	v_fmac_f32_e32 v37, v5, v36
	v_fma_f32 v36, v10, v18, -v2
	v_mul_f32_e32 v18, v11, v18
	v_mul_f32_e32 v2, v13, v30
	v_fmac_f32_e32 v18, v10, v19
	v_fma_f32 v19, v12, v29, -v2
	s_waitcnt vmcnt(2)
	v_mul_f32_e32 v2, v28, v15
	v_mul_f32_e32 v29, v13, v29
	v_fma_f32 v43, v27, v14, -v2
	v_mul_f32_e32 v27, v27, v15
	v_fmac_f32_e32 v29, v12, v30
	v_fmac_f32_e32 v27, v28, v14
	ds_read_b64 v[2:3], v48
	ds_read_b64 v[4:5], v46 offset:15000
	ds_read_b64 v[10:11], v46
	ds_read_b64 v[12:13], v35
	s_waitcnt vmcnt(1)
	v_mul_f32_e32 v14, v39, v9
	v_fma_f32 v14, v38, v8, -v14
	v_mul_f32_e32 v8, v39, v8
	v_fmac_f32_e32 v8, v38, v9
	v_mul_f32_e32 v9, v7, v17
	v_fma_f32 v28, v6, v16, -v9
	v_mul_f32_e32 v38, v6, v17
	s_waitcnt vmcnt(0) lgkmcnt(2)
	v_mul_f32_e32 v6, v5, v41
	v_fmac_f32_e32 v38, v7, v16
	v_fma_f32 v39, v4, v40, -v6
	v_sub_f32_e32 v9, v36, v14
	v_mul_f32_e32 v41, v4, v41
	s_waitcnt lgkmcnt(1)
	v_sub_f32_e32 v16, v11, v29
	v_sub_f32_e32 v8, v18, v8
	v_fma_f32 v4, v36, 2.0, -v9
	v_sub_f32_e32 v17, v44, v34
	v_sub_f32_e32 v34, v61, v37
	s_waitcnt lgkmcnt(0)
	v_sub_f32_e32 v36, v12, v28
	v_sub_f32_e32 v37, v13, v38
	;; [unrolled: 1-line block ×3, first 2 shown]
	v_fmac_f32_e32 v41, v5, v40
	v_sub_f32_e32 v15, v10, v19
	v_fma_f32 v5, v18, 2.0, -v8
	v_add_f32_e32 v9, v16, v9
	v_sub_f32_e32 v18, v2, v60
	v_sub_f32_e32 v19, v3, v31
	;; [unrolled: 1-line block ×5, first 2 shown]
	v_fma_f32 v28, v12, 2.0, -v36
	v_fma_f32 v12, v43, 2.0, -v38
	;; [unrolled: 1-line block ×5, first 2 shown]
	v_sub_f32_e32 v16, v55, v23
	v_fma_f32 v2, v44, 2.0, -v17
	v_fma_f32 v23, v20, 2.0, -v31
	;; [unrolled: 1-line block ×3, first 2 shown]
	v_add_f32_e32 v30, v33, v30
	v_sub_f32_e32 v12, v28, v12
	v_lshlrev_b32_e32 v44, 2, v49
	v_fma_f32 v29, v21, 2.0, -v33
	v_fma_f32 v32, v33, 2.0, -v30
	;; [unrolled: 1-line block ×3, first 2 shown]
	v_add_f32_e32 v28, v37, v38
	v_or_b32_e32 v38, v44, v49
	v_fma_f32 v6, v10, 2.0, -v15
	v_and_b32_e32 v38, 19, v38
	v_sub_f32_e32 v4, v6, v4
	v_sub_f32_e32 v5, v7, v5
	;; [unrolled: 1-line block ×3, first 2 shown]
	v_mul_u32_u24_e32 v38, 0xc8, v38
	v_fma_f32 v6, v6, 2.0, -v4
	v_fma_f32 v7, v7, 2.0, -v5
	;; [unrolled: 1-line block ×3, first 2 shown]
	v_add3_u32 v38, 0, v38, v1
	v_fma_f32 v15, v3, 2.0, -v19
	v_fma_f32 v3, v55, 2.0, -v16
	s_barrier
	ds_write2_b64 v38, v[6:7], v[10:11] offset1:100
	v_add_u32_e32 v6, 0x400, v38
	v_lshlrev_b32_e32 v55, 2, v52
	ds_write2_b64 v6, v[4:5], v[8:9] offset0:72 offset1:172
	v_and_or_b32 v4, v55, s2, v24
	v_sub_f32_e32 v2, v14, v2
	v_sub_f32_e32 v3, v15, v3
	;; [unrolled: 1-line block ×3, first 2 shown]
	v_add_f32_e32 v17, v19, v17
	v_mul_u32_u24_e32 v4, 0xc8, v4
	v_fma_f32 v14, v14, 2.0, -v2
	v_fma_f32 v15, v15, 2.0, -v3
	;; [unrolled: 1-line block ×4, first 2 shown]
	v_add3_u32 v4, 0, v4, v1
	v_fma_f32 v21, v61, 2.0, -v34
	ds_write2_b64 v4, v[14:15], v[18:19] offset1:100
	v_add_u32_e32 v4, 0x400, v4
	v_lshlrev_b32_e32 v54, 2, v51
	v_sub_f32_e32 v20, v23, v20
	v_sub_f32_e32 v21, v29, v21
	ds_write2_b64 v4, v[2:3], v[16:17] offset0:72 offset1:172
	v_and_or_b32 v2, v54, s2, v42
	v_fma_f32 v22, v23, 2.0, -v20
	v_fma_f32 v23, v29, 2.0, -v21
	v_sub_f32_e32 v29, v31, v34
	v_mul_u32_u24_e32 v2, 0xc8, v2
	v_fma_f32 v31, v31, 2.0, -v29
	v_add3_u32 v2, 0, v2, v1
	v_sub_f32_e32 v39, v27, v41
	ds_write2_b64 v2, v[22:23], v[31:32] offset1:100
	v_add_u32_e32 v2, 0x400, v2
	v_lshlrev_b32_e32 v43, 2, v53
	v_fma_f32 v34, v13, 2.0, -v37
	v_fma_f32 v13, v27, 2.0, -v39
	ds_write2_b64 v2, v[20:21], v[29:30] offset0:72 offset1:172
	v_and_or_b32 v2, v43, s2, v45
	v_sub_f32_e32 v13, v34, v13
	v_sub_f32_e32 v27, v36, v39
	v_mul_u32_u24_e32 v2, 0xc8, v2
	v_fma_f32 v34, v34, 2.0, -v13
	v_fma_f32 v36, v36, 2.0, -v27
	;; [unrolled: 1-line block ×3, first 2 shown]
	v_add3_u32 v1, 0, v2, v1
	ds_write2_b64 v1, v[33:34], v[36:37] offset1:100
	v_add_u32_e32 v1, 0x400, v1
	ds_write2_b64 v1, v[12:13], v[27:28] offset0:72 offset1:172
	v_add_u32_e32 v1, 0xc00, v46
	s_waitcnt lgkmcnt(0)
	s_barrier
	ds_read2_b64 v[21:24], v1 offset0:16 offset1:141
	v_add_u32_e32 v1, 0x1400, v46
	v_add_u32_e32 v9, 0x3400, v46
	ds_read2_b64 v[5:8], v1 offset0:10 offset1:160
	ds_read2_b64 v[17:20], v57 offset0:48 offset1:173
	;; [unrolled: 1-line block ×5, first 2 shown]
	ds_read_b64 v[33:34], v46
	ds_read_b64 v[31:32], v48
	;; [unrolled: 1-line block ×3, first 2 shown]
	v_cmp_gt_u32_e64 s[2:3], 25, v0
                                        ; implicit-def: $vgpr36
                                        ; implicit-def: $vgpr38
                                        ; implicit-def: $vgpr40
                                        ; implicit-def: $vgpr42
	s_and_saveexec_b64 s[18:19], s[2:3]
	s_cbranch_execz .LBB0_16
; %bb.15:
	v_lshl_add_u32 v0, v50, 3, 0
	ds_read_b64 v[27:28], v35
	ds_read_b64 v[41:42], v0 offset:6200
	ds_read_b64 v[39:40], v0 offset:9400
	;; [unrolled: 1-line block ×4, first 2 shown]
.LBB0_16:
	s_or_b64 exec, exec, s[18:19]
	v_and_b32_e32 v0, 28, v44
	v_lshlrev_b32_e32 v0, 3, v0
	global_load_dwordx4 v[44:47], v0, s[16:17] offset:128
	global_load_dwordx4 v[56:59], v0, s[16:17] offset:112
	s_load_dwordx2 s[4:5], s[4:5], 0x8
	s_andn2_b64 vcc, exec, s[0:1]
	s_waitcnt vmcnt(1) lgkmcnt(0)
	v_mul_f32_e32 v62, v45, v17
	s_waitcnt vmcnt(0)
	v_mul_f32_e32 v0, v57, v22
	v_fma_f32 v48, v56, v21, -v0
	v_mul_f32_e32 v21, v57, v21
	v_mul_f32_e32 v0, v59, v8
	v_fmac_f32_e32 v21, v56, v22
	v_fma_f32 v22, v58, v7, -v0
	v_mul_f32_e32 v0, v45, v18
	v_fma_f32 v61, v44, v17, -v0
	v_mul_f32_e32 v0, v47, v4
	v_fma_f32 v63, v46, v3, -v0
	v_and_b32_e32 v0, 60, v55
	v_mul_f32_e32 v60, v59, v7
	v_mul_f32_e32 v64, v47, v3
	v_lshlrev_b32_e32 v0, 3, v0
	v_fmac_f32_e32 v60, v58, v8
	v_fmac_f32_e32 v62, v44, v18
	;; [unrolled: 1-line block ×3, first 2 shown]
	global_load_dwordx4 v[44:47], v0, s[16:17] offset:128
	global_load_dwordx4 v[56:59], v0, s[16:17] offset:112
	s_waitcnt vmcnt(0)
	v_mul_f32_e32 v0, v57, v24
	v_fma_f32 v65, v56, v23, -v0
	v_mul_f32_e32 v23, v57, v23
	v_mul_f32_e32 v0, v59, v14
	v_fmac_f32_e32 v23, v56, v24
	v_fma_f32 v24, v58, v13, -v0
	v_mul_f32_e32 v0, v45, v20
	v_mul_f32_e32 v56, v59, v13
	v_fma_f32 v57, v44, v19, -v0
	v_mul_f32_e32 v0, v47, v10
	v_fmac_f32_e32 v56, v58, v14
	v_mul_f32_e32 v45, v45, v19
	v_fma_f32 v14, v46, v9, -v0
	v_and_b32_e32 v0, 60, v54
	v_fmac_f32_e32 v45, v44, v20
	v_mul_f32_e32 v44, v47, v9
	v_lshlrev_b32_e32 v0, 3, v0
	v_fmac_f32_e32 v44, v46, v10
	global_load_dwordx4 v[7:10], v0, s[16:17] offset:128
	global_load_dwordx4 v[17:20], v0, s[16:17] offset:112
	v_sub_f32_e32 v13, v64, v62
	s_waitcnt vmcnt(1)
	v_mul_f32_e32 v67, v11, v10
	s_waitcnt vmcnt(0)
	v_mul_f32_e32 v0, v6, v18
	v_fma_f32 v46, v5, v17, -v0
	v_mul_f32_e32 v0, v16, v20
	v_fma_f32 v47, v15, v19, -v0
	v_mul_f32_e32 v0, v2, v8
	v_fma_f32 v59, v1, v7, -v0
	v_mul_f32_e32 v0, v12, v10
	v_fma_f32 v66, v11, v9, -v0
	v_and_b32_e32 v0, 60, v43
	v_mul_f32_e32 v18, v5, v18
	v_mul_f32_e32 v8, v1, v8
	v_fmac_f32_e32 v67, v12, v9
	v_lshlrev_b32_e32 v9, 3, v0
	v_fmac_f32_e32 v18, v6, v17
	v_fmac_f32_e32 v8, v2, v7
	global_load_dwordx4 v[0:3], v9, s[16:17] offset:128
	global_load_dwordx4 v[4:7], v9, s[16:17] offset:112
	v_sub_f32_e32 v10, v61, v63
	v_sub_f32_e32 v11, v48, v63
	;; [unrolled: 1-line block ×3, first 2 shown]
	v_mul_f32_e32 v58, v15, v20
	v_sub_f32_e32 v15, v62, v64
	v_fmac_f32_e32 v58, v16, v19
	v_sub_f32_e32 v16, v56, v45
	v_sub_f32_e32 v17, v14, v57
	;; [unrolled: 1-line block ×3, first 2 shown]
	s_waitcnt vmcnt(1)
	v_mul_f32_e32 v71, v37, v1
	s_waitcnt vmcnt(0)
	v_mul_f32_e32 v9, v42, v5
	v_mul_f32_e32 v68, v41, v5
	v_fma_f32 v43, v41, v4, -v9
	v_fmac_f32_e32 v68, v42, v4
	v_mul_f32_e32 v4, v40, v7
	v_fma_f32 v41, v39, v6, -v4
	v_mul_f32_e32 v4, v38, v1
	v_fma_f32 v70, v37, v0, -v4
	v_fmac_f32_e32 v71, v38, v0
	v_mul_f32_e32 v0, v36, v3
	v_mul_f32_e32 v72, v35, v3
	v_fma_f32 v0, v35, v2, -v0
	v_fmac_f32_e32 v72, v36, v2
	v_add_f32_e32 v2, v22, v61
	v_fma_f32 v9, -0.5, v2, v33
	v_mul_f32_e32 v69, v39, v7
	v_sub_f32_e32 v2, v21, v64
	v_mov_b32_e32 v3, v9
	v_fmac_f32_e32 v69, v40, v6
	v_fmac_f32_e32 v3, 0x3f737871, v2
	v_sub_f32_e32 v4, v60, v62
	v_sub_f32_e32 v5, v48, v22
	;; [unrolled: 1-line block ×3, first 2 shown]
	v_fmac_f32_e32 v9, 0xbf737871, v2
	v_fmac_f32_e32 v3, 0x3f167918, v4
	v_add_f32_e32 v5, v5, v6
	v_fmac_f32_e32 v9, 0xbf167918, v4
	v_fmac_f32_e32 v3, 0x3e9e377a, v5
	;; [unrolled: 1-line block ×3, first 2 shown]
	v_add_f32_e32 v5, v48, v63
	v_fma_f32 v7, -0.5, v5, v33
	v_mov_b32_e32 v5, v7
	v_fmac_f32_e32 v5, 0xbf737871, v4
	v_sub_f32_e32 v6, v22, v48
	v_fmac_f32_e32 v7, 0x3f737871, v4
	v_add_f32_e32 v4, v60, v62
	v_add_f32_e32 v6, v6, v10
	v_fma_f32 v10, -0.5, v4, v34
	v_fmac_f32_e32 v5, 0x3f167918, v2
	v_fmac_f32_e32 v7, 0xbf167918, v2
	v_mov_b32_e32 v4, v10
	v_fmac_f32_e32 v5, 0x3e9e377a, v6
	v_fmac_f32_e32 v7, 0x3e9e377a, v6
	;; [unrolled: 1-line block ×3, first 2 shown]
	v_sub_f32_e32 v6, v21, v60
	v_fmac_f32_e32 v10, 0x3f737871, v11
	v_fmac_f32_e32 v4, 0xbf167918, v12
	v_add_f32_e32 v6, v6, v13
	v_fmac_f32_e32 v10, 0x3f167918, v12
	v_fmac_f32_e32 v4, 0x3e9e377a, v6
	v_fmac_f32_e32 v10, 0x3e9e377a, v6
	v_add_f32_e32 v6, v21, v64
	v_add_f32_e32 v2, v34, v21
	v_fmac_f32_e32 v34, -0.5, v6
	v_mov_b32_e32 v6, v34
	v_fmac_f32_e32 v6, 0x3f737871, v12
	v_sub_f32_e32 v13, v60, v21
	v_fmac_f32_e32 v34, 0xbf737871, v12
	v_add_f32_e32 v12, v24, v57
	v_fmac_f32_e32 v6, 0xbf167918, v11
	v_add_f32_e32 v13, v13, v15
	v_fmac_f32_e32 v34, 0x3f167918, v11
	v_fma_f32 v19, -0.5, v12, v31
	v_fmac_f32_e32 v6, 0x3e9e377a, v13
	v_fmac_f32_e32 v34, 0x3e9e377a, v13
	v_sub_f32_e32 v12, v23, v44
	v_mov_b32_e32 v13, v19
	v_fmac_f32_e32 v13, 0x3f737871, v12
	v_sub_f32_e32 v15, v65, v24
	v_fmac_f32_e32 v19, 0xbf737871, v12
	v_fmac_f32_e32 v13, 0x3f167918, v16
	v_add_f32_e32 v15, v15, v17
	v_fmac_f32_e32 v19, 0xbf167918, v16
	v_fmac_f32_e32 v13, 0x3e9e377a, v15
	;; [unrolled: 1-line block ×3, first 2 shown]
	v_add_f32_e32 v15, v65, v14
	v_fma_f32 v17, -0.5, v15, v31
	v_mov_b32_e32 v15, v17
	v_add_f32_e32 v11, v31, v65
	v_fmac_f32_e32 v15, 0xbf737871, v16
	v_sub_f32_e32 v21, v57, v14
	v_fmac_f32_e32 v17, 0x3f737871, v16
	v_add_f32_e32 v11, v11, v24
	v_fmac_f32_e32 v15, 0x3f167918, v12
	v_add_f32_e32 v20, v20, v21
	;; [unrolled: 2-line block ×3, first 2 shown]
	v_add_f32_e32 v11, v11, v57
	v_fmac_f32_e32 v15, 0x3e9e377a, v20
	v_fmac_f32_e32 v17, 0x3e9e377a, v20
	v_fma_f32 v20, -0.5, v16, v32
	v_add_f32_e32 v1, v33, v48
	v_add_f32_e32 v11, v11, v14
	v_sub_f32_e32 v21, v65, v14
	v_mov_b32_e32 v14, v20
	v_add_f32_e32 v1, v1, v22
	v_fmac_f32_e32 v14, 0xbf737871, v21
	v_sub_f32_e32 v22, v24, v57
	v_sub_f32_e32 v16, v23, v56
	;; [unrolled: 1-line block ×3, first 2 shown]
	v_fmac_f32_e32 v20, 0x3f737871, v21
	v_fmac_f32_e32 v14, 0xbf167918, v22
	v_add_f32_e32 v16, v16, v24
	v_fmac_f32_e32 v20, 0x3f167918, v22
	v_fmac_f32_e32 v14, 0x3e9e377a, v16
	;; [unrolled: 1-line block ×3, first 2 shown]
	v_add_f32_e32 v16, v23, v44
	v_add_f32_e32 v12, v32, v23
	v_fmac_f32_e32 v32, -0.5, v16
	v_mov_b32_e32 v16, v32
	v_fmac_f32_e32 v16, 0x3f737871, v22
	v_sub_f32_e32 v23, v56, v23
	v_sub_f32_e32 v24, v45, v44
	v_fmac_f32_e32 v32, 0xbf737871, v22
	v_add_f32_e32 v22, v47, v59
	v_fmac_f32_e32 v16, 0xbf167918, v21
	v_add_f32_e32 v23, v23, v24
	v_fmac_f32_e32 v32, 0x3f167918, v21
	v_fma_f32 v35, -0.5, v22, v29
	v_fmac_f32_e32 v16, 0x3e9e377a, v23
	v_fmac_f32_e32 v32, 0x3e9e377a, v23
	v_sub_f32_e32 v22, v18, v67
	v_mov_b32_e32 v23, v35
	v_fmac_f32_e32 v23, 0x3f737871, v22
	v_sub_f32_e32 v24, v58, v8
	v_sub_f32_e32 v31, v46, v47
	v_sub_f32_e32 v33, v66, v59
	v_fmac_f32_e32 v35, 0xbf737871, v22
	v_fmac_f32_e32 v23, 0x3f167918, v24
	v_add_f32_e32 v31, v31, v33
	v_fmac_f32_e32 v35, 0xbf167918, v24
	v_fmac_f32_e32 v23, 0x3e9e377a, v31
	;; [unrolled: 1-line block ×3, first 2 shown]
	v_add_f32_e32 v31, v46, v66
	v_add_f32_e32 v21, v29, v46
	v_fma_f32 v29, -0.5, v31, v29
	v_mov_b32_e32 v33, v29
	v_fmac_f32_e32 v33, 0xbf737871, v24
	v_sub_f32_e32 v31, v47, v46
	v_sub_f32_e32 v36, v59, v66
	v_fmac_f32_e32 v29, 0x3f737871, v24
	v_add_f32_e32 v24, v58, v8
	v_fmac_f32_e32 v33, 0x3f167918, v22
	v_add_f32_e32 v31, v31, v36
	v_fmac_f32_e32 v29, 0xbf167918, v22
	v_fma_f32 v40, -0.5, v24, v30
	v_fmac_f32_e32 v33, 0x3e9e377a, v31
	v_fmac_f32_e32 v29, 0x3e9e377a, v31
	v_sub_f32_e32 v24, v46, v66
	v_mov_b32_e32 v31, v40
	v_fmac_f32_e32 v31, 0xbf737871, v24
	v_sub_f32_e32 v36, v47, v59
	v_sub_f32_e32 v37, v18, v58
	;; [unrolled: 1-line block ×3, first 2 shown]
	v_fmac_f32_e32 v40, 0x3f737871, v24
	v_fmac_f32_e32 v31, 0xbf167918, v36
	v_add_f32_e32 v37, v37, v38
	v_fmac_f32_e32 v40, 0x3f167918, v36
	v_fmac_f32_e32 v31, 0x3e9e377a, v37
	;; [unrolled: 1-line block ×3, first 2 shown]
	v_add_f32_e32 v37, v18, v67
	v_add_f32_e32 v22, v30, v18
	v_fmac_f32_e32 v30, -0.5, v37
	v_add_f32_e32 v22, v22, v58
	v_mov_b32_e32 v42, v30
	v_add_f32_e32 v22, v22, v8
	v_fmac_f32_e32 v42, 0x3f737871, v36
	v_sub_f32_e32 v18, v58, v18
	v_sub_f32_e32 v8, v8, v67
	v_fmac_f32_e32 v30, 0xbf737871, v36
	v_fmac_f32_e32 v42, 0xbf167918, v24
	v_add_f32_e32 v8, v18, v8
	v_fmac_f32_e32 v30, 0x3f167918, v24
	v_fmac_f32_e32 v42, 0x3e9e377a, v8
	;; [unrolled: 1-line block ×3, first 2 shown]
	v_add_f32_e32 v8, v27, v43
	v_add_f32_e32 v8, v8, v41
	;; [unrolled: 1-line block ×7, first 2 shown]
	v_fma_f32 v56, -0.5, v8, v27
	v_sub_f32_e32 v8, v43, v41
	v_sub_f32_e32 v18, v0, v70
	v_add_f32_e32 v21, v21, v59
	v_add_f32_e32 v59, v8, v18
	;; [unrolled: 1-line block ×3, first 2 shown]
	v_fmac_f32_e32 v27, -0.5, v8
	v_sub_f32_e32 v58, v69, v71
	v_mov_b32_e32 v24, v27
	v_sub_f32_e32 v57, v68, v72
	v_fmac_f32_e32 v24, 0xbf737871, v58
	v_sub_f32_e32 v8, v41, v43
	v_sub_f32_e32 v18, v70, v0
	v_fmac_f32_e32 v27, 0x3f737871, v58
	v_fmac_f32_e32 v24, 0x3f167918, v57
	v_add_f32_e32 v8, v8, v18
	v_fmac_f32_e32 v27, 0xbf167918, v57
	v_fmac_f32_e32 v24, 0x3e9e377a, v8
	v_fmac_f32_e32 v27, 0x3e9e377a, v8
	v_add_f32_e32 v8, v28, v68
	v_add_f32_e32 v8, v8, v69
	;; [unrolled: 1-line block ×7, first 2 shown]
	v_fma_f32 v60, -0.5, v8, v28
	v_sub_f32_e32 v61, v43, v0
	v_sub_f32_e32 v0, v68, v69
	;; [unrolled: 1-line block ×3, first 2 shown]
	v_add_f32_e32 v1, v1, v63
	v_add_f32_e32 v63, v0, v8
	;; [unrolled: 1-line block ×3, first 2 shown]
	v_fmac_f32_e32 v28, -0.5, v0
	v_add_f32_e32 v2, v2, v62
	v_sub_f32_e32 v62, v41, v70
	v_mov_b32_e32 v41, v28
	v_fmac_f32_e32 v41, 0x3f737871, v62
	v_sub_f32_e32 v0, v69, v68
	v_sub_f32_e32 v8, v71, v72
	v_fmac_f32_e32 v28, 0xbf737871, v62
	v_fmac_f32_e32 v41, 0xbf167918, v61
	v_add_f32_e32 v0, v0, v8
	v_fmac_f32_e32 v28, 0x3f167918, v61
	v_fmac_f32_e32 v41, 0x3e9e377a, v0
	;; [unrolled: 1-line block ×3, first 2 shown]
	v_mul_lo_u32 v0, v25, v49
	v_mov_b32_e32 v43, 3
	v_add_f32_e32 v12, v12, v45
	v_add_f32_e32 v12, v12, v44
	v_lshlrev_b32_sdwa v8, v43, v0 dst_sel:DWORD dst_unused:UNUSED_PAD src0_sel:DWORD src1_sel:BYTE_0
	global_load_dwordx2 v[44:45], v8, s[4:5]
	v_lshlrev_b32_sdwa v8, v43, v0 dst_sel:DWORD dst_unused:UNUSED_PAD src0_sel:DWORD src1_sel:BYTE_1
	global_load_dwordx2 v[46:47], v8, s[4:5] offset:2048
	v_bfe_u32 v0, v0, 16, 8
	v_add_f32_e32 v2, v2, v64
	v_or_b32_e32 v64, 16, v49
	v_add_f32_e32 v21, v21, v66
	v_add_f32_e32 v22, v22, v67
	v_mov_b32_e32 v39, v60
	v_mov_b32_e32 v38, v56
	v_fmac_f32_e32 v39, 0xbf737871, v61
	v_fmac_f32_e32 v38, 0x3f737871, v57
	;; [unrolled: 1-line block ×6, first 2 shown]
	s_waitcnt vmcnt(0)
	v_mul_f32_e32 v18, v44, v47
	v_mul_f32_e32 v8, v45, v47
	v_fmac_f32_e32 v18, v45, v46
	v_mov_b32_e32 v45, 0x1000
	v_lshl_or_b32 v0, v0, 3, v45
	v_fma_f32 v8, v44, v46, -v8
	global_load_dwordx2 v[46:47], v0, s[4:5]
	s_waitcnt vmcnt(0)
	v_mul_f32_e32 v0, v18, v47
	v_fma_f32 v44, v46, v8, -v0
	v_mul_f32_e32 v8, v8, v47
	v_fmac_f32_e32 v8, v46, v18
	v_mul_f32_e32 v0, v2, v8
	v_fma_f32 v0, v1, v44, -v0
	v_mul_f32_e32 v1, v1, v8
	v_fmac_f32_e32 v1, v2, v44
	v_mul_lo_u32 v2, v25, v64
	v_lshlrev_b32_sdwa v8, v43, v2 dst_sel:DWORD dst_unused:UNUSED_PAD src0_sel:DWORD src1_sel:BYTE_0
	global_load_dwordx2 v[46:47], v8, s[4:5]
	v_lshlrev_b32_sdwa v8, v43, v2 dst_sel:DWORD dst_unused:UNUSED_PAD src0_sel:DWORD src1_sel:BYTE_1
	global_load_dwordx2 v[65:66], v8, s[4:5] offset:2048
	v_bfe_u32 v2, v2, 16, 8
	v_lshl_or_b32 v2, v2, 3, v45
	s_waitcnt vmcnt(0)
	v_mul_f32_e32 v8, v47, v66
	v_mul_f32_e32 v18, v46, v66
	v_fma_f32 v8, v46, v65, -v8
	v_fmac_f32_e32 v18, v47, v65
	global_load_dwordx2 v[46:47], v2, s[4:5]
	v_or_b32_e32 v65, 32, v49
	s_waitcnt vmcnt(0)
	v_mul_f32_e32 v2, v18, v47
	v_fma_f32 v44, v46, v8, -v2
	v_mul_f32_e32 v8, v8, v47
	v_fmac_f32_e32 v8, v46, v18
	v_mul_f32_e32 v2, v4, v8
	v_fma_f32 v2, v3, v44, -v2
	v_mul_f32_e32 v3, v3, v8
	v_fmac_f32_e32 v3, v4, v44
	v_mul_lo_u32 v4, v25, v65
	v_lshlrev_b32_sdwa v8, v43, v4 dst_sel:DWORD dst_unused:UNUSED_PAD src0_sel:DWORD src1_sel:BYTE_0
	global_load_dwordx2 v[46:47], v8, s[4:5]
	v_lshlrev_b32_sdwa v8, v43, v4 dst_sel:DWORD dst_unused:UNUSED_PAD src0_sel:DWORD src1_sel:BYTE_1
	global_load_dwordx2 v[66:67], v8, s[4:5] offset:2048
	v_bfe_u32 v4, v4, 16, 8
	v_lshl_or_b32 v4, v4, 3, v45
	s_waitcnt vmcnt(0)
	v_mul_f32_e32 v8, v47, v67
	v_mul_f32_e32 v18, v46, v67
	v_fma_f32 v8, v46, v66, -v8
	v_fmac_f32_e32 v18, v47, v66
	global_load_dwordx2 v[46:47], v4, s[4:5]
	v_or_b32_e32 v66, 48, v49
	;; [unrolled: 23-line block ×3, first 2 shown]
	s_waitcnt vmcnt(0)
	v_mul_f32_e32 v6, v18, v47
	v_fma_f32 v44, v46, v8, -v6
	v_mul_f32_e32 v8, v8, v47
	v_fmac_f32_e32 v8, v46, v18
	v_mul_f32_e32 v6, v34, v8
	v_fma_f32 v6, v7, v44, -v6
	v_mul_f32_e32 v7, v7, v8
	v_mul_lo_u32 v8, v25, v67
	v_fmac_f32_e32 v7, v34, v44
	v_lshlrev_b32_sdwa v18, v43, v8 dst_sel:DWORD dst_unused:UNUSED_PAD src0_sel:DWORD src1_sel:BYTE_0
	global_load_dwordx2 v[46:47], v18, s[4:5]
	v_lshlrev_b32_sdwa v18, v43, v8 dst_sel:DWORD dst_unused:UNUSED_PAD src0_sel:DWORD src1_sel:BYTE_1
	global_load_dwordx2 v[68:69], v18, s[4:5] offset:2048
	v_bfe_u32 v8, v8, 16, 8
	v_lshl_or_b32 v8, v8, 3, v45
	s_waitcnt vmcnt(0)
	v_mul_f32_e32 v18, v47, v69
	v_mul_f32_e32 v34, v46, v69
	v_fma_f32 v18, v46, v68, -v18
	v_fmac_f32_e32 v34, v47, v68
	global_load_dwordx2 v[46:47], v8, s[4:5]
	s_waitcnt vmcnt(0)
	v_mul_f32_e32 v8, v34, v47
	v_fma_f32 v44, v46, v18, -v8
	v_mul_f32_e32 v18, v18, v47
	v_fmac_f32_e32 v18, v46, v34
	v_mul_f32_e32 v8, v10, v18
	v_fma_f32 v8, v9, v44, -v8
	v_mul_f32_e32 v9, v9, v18
	v_and_b32_e32 v18, 15, v52
	v_fmac_f32_e32 v9, v10, v44
	v_mul_lo_u32 v10, v25, v18
	v_lshlrev_b32_sdwa v34, v43, v10 dst_sel:DWORD dst_unused:UNUSED_PAD src0_sel:DWORD src1_sel:BYTE_0
	global_load_dwordx2 v[46:47], v34, s[4:5]
	v_lshlrev_b32_sdwa v34, v43, v10 dst_sel:DWORD dst_unused:UNUSED_PAD src0_sel:DWORD src1_sel:BYTE_1
	global_load_dwordx2 v[68:69], v34, s[4:5] offset:2048
	v_bfe_u32 v10, v10, 16, 8
	v_lshl_or_b32 v10, v10, 3, v45
	s_waitcnt vmcnt(0)
	v_mul_f32_e32 v34, v47, v69
	v_mul_f32_e32 v44, v46, v69
	v_fma_f32 v34, v46, v68, -v34
	v_fmac_f32_e32 v44, v47, v68
	global_load_dwordx2 v[46:47], v10, s[4:5]
	s_waitcnt vmcnt(0)
	v_mul_f32_e32 v10, v44, v47
	v_fma_f32 v48, v46, v34, -v10
	v_mul_f32_e32 v34, v34, v47
	v_fmac_f32_e32 v34, v46, v44
	v_mul_f32_e32 v10, v12, v34
	v_fma_f32 v10, v11, v48, -v10
	v_mul_f32_e32 v11, v11, v34
	v_fmac_f32_e32 v11, v12, v48
	v_or_b32_e32 v12, 16, v18
	v_mul_lo_u32 v12, v25, v12
	v_lshlrev_b32_sdwa v34, v43, v12 dst_sel:DWORD dst_unused:UNUSED_PAD src0_sel:DWORD src1_sel:BYTE_0
	global_load_dwordx2 v[46:47], v34, s[4:5]
	v_lshlrev_b32_sdwa v34, v43, v12 dst_sel:DWORD dst_unused:UNUSED_PAD src0_sel:DWORD src1_sel:BYTE_1
	global_load_dwordx2 v[68:69], v34, s[4:5] offset:2048
	v_bfe_u32 v12, v12, 16, 8
	v_lshl_or_b32 v12, v12, 3, v45
	s_waitcnt vmcnt(0)
	v_mul_f32_e32 v34, v47, v69
	v_mul_f32_e32 v44, v46, v69
	v_fma_f32 v34, v46, v68, -v34
	v_fmac_f32_e32 v44, v47, v68
	global_load_dwordx2 v[46:47], v12, s[4:5]
	s_waitcnt vmcnt(0)
	v_mul_f32_e32 v12, v44, v47
	v_fma_f32 v48, v46, v34, -v12
	v_mul_f32_e32 v34, v34, v47
	v_fmac_f32_e32 v34, v46, v44
	v_mul_f32_e32 v12, v14, v34
	v_fma_f32 v12, v13, v48, -v12
	v_mul_f32_e32 v13, v13, v34
	v_fmac_f32_e32 v13, v14, v48
	v_or_b32_e32 v14, 32, v18
	;; [unrolled: 23-line block ×3, first 2 shown]
	v_mul_lo_u32 v16, v25, v16
	v_or_b32_e32 v18, 64, v18
	v_mul_lo_u32 v18, v25, v18
	v_lshlrev_b32_sdwa v34, v43, v16 dst_sel:DWORD dst_unused:UNUSED_PAD src0_sel:DWORD src1_sel:BYTE_0
	global_load_dwordx2 v[46:47], v34, s[4:5]
	v_lshlrev_b32_sdwa v34, v43, v16 dst_sel:DWORD dst_unused:UNUSED_PAD src0_sel:DWORD src1_sel:BYTE_1
	global_load_dwordx2 v[68:69], v34, s[4:5] offset:2048
	v_bfe_u32 v16, v16, 16, 8
	v_lshl_or_b32 v16, v16, 3, v45
	s_waitcnt vmcnt(0)
	v_mul_f32_e32 v34, v47, v69
	v_mul_f32_e32 v44, v46, v69
	v_fma_f32 v34, v46, v68, -v34
	v_fmac_f32_e32 v44, v47, v68
	global_load_dwordx2 v[46:47], v16, s[4:5]
	s_waitcnt vmcnt(0)
	v_mul_f32_e32 v16, v44, v47
	v_fma_f32 v48, v46, v34, -v16
	v_mul_f32_e32 v34, v34, v47
	v_fmac_f32_e32 v34, v46, v44
	v_mul_f32_e32 v16, v32, v34
	v_fma_f32 v16, v17, v48, -v16
	v_mul_f32_e32 v17, v17, v34
	v_fmac_f32_e32 v17, v32, v48
	v_lshlrev_b32_sdwa v32, v43, v18 dst_sel:DWORD dst_unused:UNUSED_PAD src0_sel:DWORD src1_sel:BYTE_0
	global_load_dwordx2 v[46:47], v32, s[4:5]
	v_lshlrev_b32_sdwa v32, v43, v18 dst_sel:DWORD dst_unused:UNUSED_PAD src0_sel:DWORD src1_sel:BYTE_1
	global_load_dwordx2 v[68:69], v32, s[4:5] offset:2048
	v_bfe_u32 v18, v18, 16, 8
	v_lshl_or_b32 v18, v18, 3, v45
	s_waitcnt vmcnt(0)
	v_mul_f32_e32 v32, v47, v69
	v_mul_f32_e32 v34, v46, v69
	v_fma_f32 v32, v46, v68, -v32
	v_fmac_f32_e32 v34, v47, v68
	global_load_dwordx2 v[46:47], v18, s[4:5]
	s_waitcnt vmcnt(0)
	v_mul_f32_e32 v18, v34, v47
	v_fma_f32 v44, v46, v32, -v18
	v_mul_f32_e32 v32, v32, v47
	v_fmac_f32_e32 v32, v46, v34
	v_mul_f32_e32 v18, v20, v32
	v_fma_f32 v18, v19, v44, -v18
	v_mul_f32_e32 v19, v19, v32
	v_fmac_f32_e32 v19, v20, v44
	v_and_b32_e32 v44, 15, v51
	v_mul_lo_u32 v20, v25, v44
	v_lshlrev_b32_sdwa v32, v43, v20 dst_sel:DWORD dst_unused:UNUSED_PAD src0_sel:DWORD src1_sel:BYTE_0
	global_load_dwordx2 v[46:47], v32, s[4:5]
	v_lshlrev_b32_sdwa v32, v43, v20 dst_sel:DWORD dst_unused:UNUSED_PAD src0_sel:DWORD src1_sel:BYTE_1
	global_load_dwordx2 v[68:69], v32, s[4:5] offset:2048
	v_bfe_u32 v20, v20, 16, 8
	v_lshl_or_b32 v20, v20, 3, v45
	s_waitcnt vmcnt(0)
	v_mul_f32_e32 v32, v47, v69
	v_mul_f32_e32 v34, v46, v69
	v_fma_f32 v32, v46, v68, -v32
	v_fmac_f32_e32 v34, v47, v68
	global_load_dwordx2 v[46:47], v20, s[4:5]
	s_waitcnt vmcnt(0)
	v_mul_f32_e32 v20, v34, v47
	v_fma_f32 v48, v46, v32, -v20
	v_mul_f32_e32 v32, v32, v47
	v_fmac_f32_e32 v32, v46, v34
	v_mul_f32_e32 v20, v22, v32
	v_fma_f32 v20, v21, v48, -v20
	v_mul_f32_e32 v21, v21, v32
	v_fmac_f32_e32 v21, v22, v48
	v_or_b32_e32 v22, 16, v44
	v_mul_lo_u32 v22, v25, v22
	v_lshlrev_b32_sdwa v32, v43, v22 dst_sel:DWORD dst_unused:UNUSED_PAD src0_sel:DWORD src1_sel:BYTE_0
	global_load_dwordx2 v[46:47], v32, s[4:5]
	v_lshlrev_b32_sdwa v32, v43, v22 dst_sel:DWORD dst_unused:UNUSED_PAD src0_sel:DWORD src1_sel:BYTE_1
	global_load_dwordx2 v[68:69], v32, s[4:5] offset:2048
	v_bfe_u32 v22, v22, 16, 8
	v_lshl_or_b32 v22, v22, 3, v45
	s_waitcnt vmcnt(0)
	v_mul_f32_e32 v32, v47, v69
	v_mul_f32_e32 v34, v46, v69
	v_fma_f32 v32, v46, v68, -v32
	v_fmac_f32_e32 v34, v47, v68
	global_load_dwordx2 v[46:47], v22, s[4:5]
	s_waitcnt vmcnt(0)
	v_mul_f32_e32 v22, v34, v47
	v_fma_f32 v48, v46, v32, -v22
	v_mul_f32_e32 v32, v32, v47
	v_fmac_f32_e32 v32, v46, v34
	v_mul_f32_e32 v22, v31, v32
	v_fma_f32 v22, v23, v48, -v22
	v_mul_f32_e32 v23, v23, v32
	v_fmac_f32_e32 v23, v31, v48
	v_or_b32_e32 v31, 32, v44
	v_mul_lo_u32 v34, v25, v31
	v_lshlrev_b32_sdwa v31, v43, v34 dst_sel:DWORD dst_unused:UNUSED_PAD src0_sel:DWORD src1_sel:BYTE_0
	v_lshlrev_b32_sdwa v46, v43, v34 dst_sel:DWORD dst_unused:UNUSED_PAD src0_sel:DWORD src1_sel:BYTE_1
	global_load_dwordx2 v[31:32], v31, s[4:5]
	s_nop 0
	global_load_dwordx2 v[46:47], v46, s[4:5] offset:2048
	s_waitcnt vmcnt(0)
	v_mul_f32_e32 v48, v32, v47
	v_fma_f32 v48, v31, v46, -v48
	v_mul_f32_e32 v47, v31, v47
	v_bfe_u32 v31, v34, 16, 8
	v_lshl_or_b32 v31, v31, 3, v45
	v_fmac_f32_e32 v47, v32, v46
	global_load_dwordx2 v[31:32], v31, s[4:5]
	s_waitcnt vmcnt(0)
	v_mul_f32_e32 v34, v47, v32
	v_mul_f32_e32 v32, v48, v32
	v_fmac_f32_e32 v32, v31, v47
	v_fma_f32 v34, v31, v48, -v34
	v_mul_f32_e32 v31, v42, v32
	v_fma_f32 v31, v33, v34, -v31
	v_mul_f32_e32 v32, v33, v32
	v_or_b32_e32 v33, 48, v44
	v_fmac_f32_e32 v32, v42, v34
	v_mul_lo_u32 v42, v25, v33
	v_lshlrev_b32_sdwa v33, v43, v42 dst_sel:DWORD dst_unused:UNUSED_PAD src0_sel:DWORD src1_sel:BYTE_0
	v_lshlrev_b32_sdwa v46, v43, v42 dst_sel:DWORD dst_unused:UNUSED_PAD src0_sel:DWORD src1_sel:BYTE_1
	global_load_dwordx2 v[33:34], v33, s[4:5]
	s_nop 0
	global_load_dwordx2 v[46:47], v46, s[4:5] offset:2048
	s_waitcnt vmcnt(0)
	v_mul_f32_e32 v48, v34, v47
	v_fma_f32 v48, v33, v46, -v48
	v_mul_f32_e32 v47, v33, v47
	v_bfe_u32 v33, v42, 16, 8
	v_lshl_or_b32 v33, v33, 3, v45
	v_fmac_f32_e32 v47, v34, v46
	global_load_dwordx2 v[33:34], v33, s[4:5]
	s_waitcnt vmcnt(0)
	v_mul_f32_e32 v42, v47, v34
	v_mul_f32_e32 v34, v48, v34
	v_fmac_f32_e32 v34, v33, v47
	v_fma_f32 v42, v33, v48, -v42
	v_mul_f32_e32 v33, v30, v34
	v_fma_f32 v33, v29, v42, -v33
	v_mul_f32_e32 v34, v29, v34
	v_or_b32_e32 v29, 64, v44
	v_fmac_f32_e32 v34, v30, v42
	v_mul_lo_u32 v42, v25, v29
	v_lshlrev_b32_sdwa v29, v43, v42 dst_sel:DWORD dst_unused:UNUSED_PAD src0_sel:DWORD src1_sel:BYTE_0
	v_lshlrev_b32_sdwa v44, v43, v42 dst_sel:DWORD dst_unused:UNUSED_PAD src0_sel:DWORD src1_sel:BYTE_1
	global_load_dwordx2 v[29:30], v29, s[4:5]
	s_nop 0
	global_load_dwordx2 v[46:47], v44, s[4:5] offset:2048
	s_waitcnt vmcnt(0)
	v_mul_f32_e32 v44, v30, v47
	v_fma_f32 v44, v29, v46, -v44
	v_mul_f32_e32 v47, v29, v47
	v_bfe_u32 v29, v42, 16, 8
	v_lshl_or_b32 v29, v29, 3, v45
	v_fmac_f32_e32 v47, v30, v46
	global_load_dwordx2 v[29:30], v29, s[4:5]
	s_waitcnt vmcnt(0)
	v_mul_f32_e32 v42, v47, v30
	v_mul_f32_e32 v30, v44, v30
	v_fmac_f32_e32 v30, v29, v47
	v_fma_f32 v42, v29, v44, -v42
	v_mul_f32_e32 v29, v40, v30
	v_and_b32_e32 v44, 15, v53
	v_fma_f32 v29, v35, v42, -v29
	v_mul_f32_e32 v30, v35, v30
	v_mul_lo_u32 v35, v25, v44
	v_fmac_f32_e32 v30, v40, v42
	v_lshlrev_b32_sdwa v40, v43, v35 dst_sel:DWORD dst_unused:UNUSED_PAD src0_sel:DWORD src1_sel:BYTE_0
	global_load_dwordx2 v[46:47], v40, s[4:5]
	v_lshlrev_b32_sdwa v40, v43, v35 dst_sel:DWORD dst_unused:UNUSED_PAD src0_sel:DWORD src1_sel:BYTE_1
	global_load_dwordx2 v[68:69], v40, s[4:5] offset:2048
	v_bfe_u32 v35, v35, 16, 8
	v_lshl_or_b32 v35, v35, 3, v45
	s_waitcnt vmcnt(0)
	v_mul_f32_e32 v40, v47, v69
	v_mul_f32_e32 v42, v46, v69
	v_fma_f32 v40, v46, v68, -v40
	v_fmac_f32_e32 v42, v47, v68
	global_load_dwordx2 v[46:47], v35, s[4:5]
	s_waitcnt vmcnt(0)
	v_mul_f32_e32 v35, v42, v47
	v_fma_f32 v48, v46, v40, -v35
	v_mul_f32_e32 v40, v40, v47
	v_fmac_f32_e32 v40, v46, v42
	v_mul_f32_e32 v35, v37, v40
	v_fma_f32 v35, v36, v48, -v35
	v_mul_f32_e32 v36, v36, v40
	v_fmac_f32_e32 v36, v37, v48
	v_or_b32_e32 v37, 16, v44
	v_mul_lo_u32 v37, v25, v37
	v_lshlrev_b32_sdwa v40, v43, v37 dst_sel:DWORD dst_unused:UNUSED_PAD src0_sel:DWORD src1_sel:BYTE_0
	global_load_dwordx2 v[46:47], v40, s[4:5]
	v_lshlrev_b32_sdwa v40, v43, v37 dst_sel:DWORD dst_unused:UNUSED_PAD src0_sel:DWORD src1_sel:BYTE_1
	global_load_dwordx2 v[68:69], v40, s[4:5] offset:2048
	v_bfe_u32 v37, v37, 16, 8
	v_lshl_or_b32 v37, v37, 3, v45
	s_waitcnt vmcnt(0)
	v_mul_f32_e32 v40, v47, v69
	v_mul_f32_e32 v42, v46, v69
	v_fma_f32 v40, v46, v68, -v40
	v_fmac_f32_e32 v42, v47, v68
	global_load_dwordx2 v[46:47], v37, s[4:5]
	s_waitcnt vmcnt(0)
	v_mul_f32_e32 v37, v42, v47
	v_fma_f32 v48, v46, v40, -v37
	v_mul_f32_e32 v40, v40, v47
	v_fmac_f32_e32 v40, v46, v42
	v_mul_f32_e32 v37, v39, v40
	v_fma_f32 v37, v38, v48, -v37
	v_mul_f32_e32 v38, v38, v40
	v_fmac_f32_e32 v38, v39, v48
	v_or_b32_e32 v39, 32, v44
	v_mul_lo_u32 v42, v25, v39
	v_lshlrev_b32_sdwa v39, v43, v42 dst_sel:DWORD dst_unused:UNUSED_PAD src0_sel:DWORD src1_sel:BYTE_0
	v_lshlrev_b32_sdwa v46, v43, v42 dst_sel:DWORD dst_unused:UNUSED_PAD src0_sel:DWORD src1_sel:BYTE_1
	global_load_dwordx2 v[39:40], v39, s[4:5]
	s_nop 0
	global_load_dwordx2 v[46:47], v46, s[4:5] offset:2048
	s_waitcnt vmcnt(0)
	v_mul_f32_e32 v48, v40, v47
	v_fma_f32 v48, v39, v46, -v48
	v_mul_f32_e32 v47, v39, v47
	v_bfe_u32 v39, v42, 16, 8
	v_lshl_or_b32 v39, v39, 3, v45
	v_fmac_f32_e32 v47, v40, v46
	global_load_dwordx2 v[39:40], v39, s[4:5]
	s_waitcnt vmcnt(0)
	v_mul_f32_e32 v42, v47, v40
	v_mul_f32_e32 v40, v48, v40
	v_fmac_f32_e32 v40, v39, v47
	v_fma_f32 v42, v39, v48, -v42
	v_mul_f32_e32 v39, v41, v40
	v_fma_f32 v39, v24, v42, -v39
	v_mul_f32_e32 v40, v24, v40
	v_or_b32_e32 v24, 48, v44
	v_mul_lo_u32 v24, v25, v24
	v_fmac_f32_e32 v40, v41, v42
	v_lshlrev_b32_sdwa v41, v43, v24 dst_sel:DWORD dst_unused:UNUSED_PAD src0_sel:DWORD src1_sel:BYTE_0
	v_lshlrev_b32_sdwa v46, v43, v24 dst_sel:DWORD dst_unused:UNUSED_PAD src0_sel:DWORD src1_sel:BYTE_1
	global_load_dwordx2 v[41:42], v41, s[4:5]
	v_bfe_u32 v24, v24, 16, 8
	global_load_dwordx2 v[46:47], v46, s[4:5] offset:2048
	v_lshl_or_b32 v24, v24, 3, v45
	s_waitcnt vmcnt(0)
	v_mul_f32_e32 v48, v42, v47
	v_mul_f32_e32 v47, v41, v47
	v_fma_f32 v48, v41, v46, -v48
	v_fmac_f32_e32 v47, v42, v46
	global_load_dwordx2 v[41:42], v24, s[4:5]
	s_waitcnt vmcnt(0)
	v_mul_f32_e32 v24, v47, v42
	v_mul_f32_e32 v42, v48, v42
	v_fmac_f32_e32 v42, v41, v47
	v_fma_f32 v24, v41, v48, -v24
	v_mul_f32_e32 v41, v28, v42
	v_mul_f32_e32 v42, v27, v42
	v_fma_f32 v41, v27, v24, -v41
	v_fmac_f32_e32 v42, v28, v24
	v_or_b32_e32 v24, 64, v44
	v_mul_lo_u32 v24, v25, v24
	v_lshlrev_b32_sdwa v27, v43, v24 dst_sel:DWORD dst_unused:UNUSED_PAD src0_sel:DWORD src1_sel:BYTE_0
	v_lshlrev_b32_sdwa v43, v43, v24 dst_sel:DWORD dst_unused:UNUSED_PAD src0_sel:DWORD src1_sel:BYTE_1
	v_bfe_u32 v24, v24, 16, 8
	v_lshl_or_b32 v24, v24, 3, v45
	global_load_dwordx2 v[27:28], v27, s[4:5]
	s_nop 0
	global_load_dwordx2 v[43:44], v43, s[4:5] offset:2048
	s_nop 0
	global_load_dwordx2 v[45:46], v24, s[4:5]
	s_cbranch_vccnz .LBB0_20
; %bb.17:
	v_mad_u64_u32 v[47:48], s[0:1], s12, v50, 0
	v_mad_u64_u32 v[69:70], s[0:1], s8, v49, 0
	v_mov_b32_e32 v24, v48
	v_mad_u64_u32 v[71:72], s[0:1], s13, v50, v[24:25]
	v_mov_b32_e32 v24, v70
	;; [unrolled: 2-line block ×3, first 2 shown]
	s_lshl_b64 s[0:1], s[6:7], 3
	s_add_u32 s0, s14, s0
	v_lshlrev_b64 v[47:48], 3, v[47:48]
	s_addc_u32 s1, s15, s1
	v_mov_b32_e32 v70, v72
	v_mov_b32_e32 v68, s1
	v_add_co_u32_e32 v24, vcc, s0, v47
	v_addc_co_u32_e32 v68, vcc, v68, v48, vcc
	v_lshlrev_b64 v[47:48], 3, v[69:70]
	v_mad_u64_u32 v[69:70], s[0:1], s8, v64, 0
	v_add_co_u32_e32 v47, vcc, v24, v47
	v_mad_u64_u32 v[70:71], s[0:1], s9, v64, v[70:71]
	v_mad_u64_u32 v[71:72], s[0:1], s8, v65, 0
	v_addc_co_u32_e32 v48, vcc, v68, v48, vcc
	global_store_dwordx2 v[47:48], v[0:1], off
	v_lshlrev_b64 v[47:48], 3, v[69:70]
	v_mov_b32_e32 v69, v72
	v_mad_u64_u32 v[69:70], s[0:1], s9, v65, v[69:70]
	v_add_co_u32_e32 v47, vcc, v24, v47
	v_mov_b32_e32 v72, v69
	v_mad_u64_u32 v[69:70], s[0:1], s8, v66, 0
	v_addc_co_u32_e32 v48, vcc, v68, v48, vcc
	global_store_dwordx2 v[47:48], v[2:3], off
	v_lshlrev_b64 v[47:48], 3, v[71:72]
	v_mad_u64_u32 v[70:71], s[0:1], s9, v66, v[70:71]
	v_mad_u64_u32 v[71:72], s[0:1], s8, v67, 0
	v_add_co_u32_e32 v47, vcc, v24, v47
	v_addc_co_u32_e32 v48, vcc, v68, v48, vcc
	global_store_dwordx2 v[47:48], v[4:5], off
	v_lshlrev_b64 v[47:48], 3, v[69:70]
	v_mov_b32_e32 v69, v72
	v_mad_u64_u32 v[69:70], s[0:1], s9, v67, v[69:70]
	v_add_co_u32_e32 v47, vcc, v24, v47
	v_mov_b32_e32 v72, v69
	v_and_b32_e32 v69, 0x1c0, v55
	v_add_u32_e32 v73, v69, v52
	v_mad_u64_u32 v[69:70], s[0:1], s8, v73, 0
	v_addc_co_u32_e32 v48, vcc, v68, v48, vcc
	global_store_dwordx2 v[47:48], v[6:7], off
	v_lshlrev_b64 v[47:48], 3, v[71:72]
	v_mad_u64_u32 v[70:71], s[0:1], s9, v73, v[70:71]
	v_add_u32_e32 v74, 16, v73
	v_mad_u64_u32 v[71:72], s[0:1], s8, v74, 0
	v_add_co_u32_e32 v47, vcc, v24, v47
	v_addc_co_u32_e32 v48, vcc, v68, v48, vcc
	global_store_dwordx2 v[47:48], v[8:9], off
	v_lshlrev_b64 v[47:48], 3, v[69:70]
	v_mov_b32_e32 v69, v72
	v_mad_u64_u32 v[69:70], s[0:1], s9, v74, v[69:70]
	v_add_co_u32_e32 v47, vcc, v24, v47
	v_addc_co_u32_e32 v48, vcc, v68, v48, vcc
	v_mov_b32_e32 v72, v69
	global_store_dwordx2 v[47:48], v[10:11], off
	v_lshlrev_b64 v[47:48], 3, v[71:72]
	v_add_u32_e32 v71, 32, v73
	v_mad_u64_u32 v[69:70], s[0:1], s8, v71, 0
	v_add_u32_e32 v74, 48, v73
	v_add_co_u32_e32 v47, vcc, v24, v47
	v_mad_u64_u32 v[70:71], s[0:1], s9, v71, v[70:71]
	v_mad_u64_u32 v[71:72], s[0:1], s8, v74, 0
	v_addc_co_u32_e32 v48, vcc, v68, v48, vcc
	global_store_dwordx2 v[47:48], v[12:13], off
	v_lshlrev_b64 v[47:48], 3, v[69:70]
	v_mov_b32_e32 v69, v72
	v_mad_u64_u32 v[69:70], s[0:1], s9, v74, v[69:70]
	v_add_co_u32_e32 v47, vcc, v24, v47
	v_addc_co_u32_e32 v48, vcc, v68, v48, vcc
	v_mov_b32_e32 v72, v69
	global_store_dwordx2 v[47:48], v[14:15], off
	v_lshlrev_b64 v[47:48], 3, v[71:72]
	v_add_u32_e32 v71, 64, v73
	v_mad_u64_u32 v[69:70], s[0:1], s8, v71, 0
	v_add_co_u32_e32 v47, vcc, v24, v47
	v_mad_u64_u32 v[70:71], s[0:1], s9, v71, v[70:71]
	v_and_b32_e32 v71, 0x1c0, v54
	v_add_u32_e32 v73, v71, v51
	v_mad_u64_u32 v[71:72], s[0:1], s8, v73, 0
	v_addc_co_u32_e32 v48, vcc, v68, v48, vcc
	global_store_dwordx2 v[47:48], v[16:17], off
	v_lshlrev_b64 v[47:48], 3, v[69:70]
	v_mov_b32_e32 v69, v72
	v_mad_u64_u32 v[69:70], s[0:1], s9, v73, v[69:70]
	v_add_co_u32_e32 v47, vcc, v24, v47
	v_addc_co_u32_e32 v48, vcc, v68, v48, vcc
	v_mov_b32_e32 v72, v69
	global_store_dwordx2 v[47:48], v[18:19], off
	v_lshlrev_b64 v[47:48], 3, v[71:72]
	v_add_u32_e32 v71, 16, v73
	v_mad_u64_u32 v[69:70], s[0:1], s8, v71, 0
	v_add_u32_e32 v74, 32, v73
	v_add_co_u32_e32 v47, vcc, v24, v47
	v_mad_u64_u32 v[70:71], s[0:1], s9, v71, v[70:71]
	v_mad_u64_u32 v[71:72], s[0:1], s8, v74, 0
	v_addc_co_u32_e32 v48, vcc, v68, v48, vcc
	global_store_dwordx2 v[47:48], v[20:21], off
	v_lshlrev_b64 v[47:48], 3, v[69:70]
	v_mov_b32_e32 v69, v72
	v_mad_u64_u32 v[69:70], s[0:1], s9, v74, v[69:70]
	v_add_co_u32_e32 v47, vcc, v24, v47
	v_addc_co_u32_e32 v48, vcc, v68, v48, vcc
	v_mov_b32_e32 v72, v69
	global_store_dwordx2 v[47:48], v[22:23], off
	v_lshlrev_b64 v[47:48], 3, v[71:72]
	v_add_u32_e32 v71, 48, v73
	v_mad_u64_u32 v[69:70], s[0:1], s8, v71, 0
	v_add_u32_e32 v73, 64, v73
	v_add_co_u32_e32 v47, vcc, v24, v47
	v_mad_u64_u32 v[70:71], s[0:1], s9, v71, v[70:71]
	v_mad_u64_u32 v[71:72], s[0:1], s8, v73, 0
	v_addc_co_u32_e32 v48, vcc, v68, v48, vcc
	global_store_dwordx2 v[47:48], v[31:32], off
	v_lshlrev_b64 v[47:48], 3, v[69:70]
	v_mov_b32_e32 v69, v72
	v_mad_u64_u32 v[69:70], s[0:1], s9, v73, v[69:70]
	v_add_co_u32_e32 v47, vcc, v24, v47
	v_addc_co_u32_e32 v48, vcc, v68, v48, vcc
	v_mov_b32_e32 v72, v69
	global_store_dwordx2 v[47:48], v[33:34], off
	v_lshlrev_b64 v[47:48], 3, v[71:72]
	s_mov_b64 s[4:5], 0
	v_add_co_u32_e32 v47, vcc, v24, v47
	v_addc_co_u32_e32 v48, vcc, v68, v48, vcc
	s_mov_b64 s[0:1], 0
	global_store_dwordx2 v[47:48], v[29:30], off
                                        ; implicit-def: $vgpr47_vgpr48
	s_and_saveexec_b64 s[16:17], s[2:3]
	s_cbranch_execz .LBB0_19
; %bb.18:
	v_mad_u64_u32 v[47:48], s[18:19], s8, v53, 0
	v_add_u32_e32 v72, 31, v49
	s_mov_b64 s[0:1], exec
	v_mad_u64_u32 v[69:70], s[18:19], s9, v53, v[48:49]
	v_mad_u64_u32 v[70:71], s[18:19], s8, v72, 0
	v_mov_b32_e32 v48, v69
	v_add_u32_e32 v69, 47, v49
	v_mov_b32_e32 v53, v71
	v_mad_u64_u32 v[71:72], s[18:19], s9, v72, v[53:54]
	v_mad_u64_u32 v[72:73], s[18:19], s8, v69, 0
	v_lshlrev_b64 v[47:48], 3, v[47:48]
	v_add_co_u32_e32 v47, vcc, v24, v47
	v_addc_co_u32_e32 v48, vcc, v68, v48, vcc
	v_mov_b32_e32 v53, v73
	global_store_dwordx2 v[47:48], v[35:36], off
	v_lshlrev_b64 v[47:48], 3, v[70:71]
	v_mad_u64_u32 v[69:70], s[18:19], s9, v69, v[53:54]
	v_add_u32_e32 v71, 63, v49
	v_add_co_u32_e32 v47, vcc, v24, v47
	v_mov_b32_e32 v73, v69
	v_mad_u64_u32 v[69:70], s[18:19], s8, v71, 0
	v_addc_co_u32_e32 v48, vcc, v68, v48, vcc
	v_mov_b32_e32 v53, v70
	global_store_dwordx2 v[47:48], v[37:38], off
	v_lshlrev_b64 v[47:48], 3, v[72:73]
	v_mad_u64_u32 v[70:71], s[18:19], s9, v71, v[53:54]
	v_add_u32_e32 v73, 0x4f, v49
	v_mad_u64_u32 v[71:72], s[18:19], s8, v73, 0
	v_add_co_u32_e32 v47, vcc, v24, v47
	v_addc_co_u32_e32 v48, vcc, v68, v48, vcc
	v_mov_b32_e32 v53, v72
	global_store_dwordx2 v[47:48], v[39:40], off
	v_lshlrev_b64 v[47:48], 3, v[69:70]
	v_mad_u64_u32 v[69:70], s[18:19], s9, v73, v[53:54]
	v_add_co_u32_e32 v47, vcc, v24, v47
	v_addc_co_u32_e32 v48, vcc, v68, v48, vcc
	v_mov_b32_e32 v72, v69
	global_store_dwordx2 v[47:48], v[41:42], off
	v_lshlrev_b64 v[47:48], 3, v[71:72]
	v_add_co_u32_e32 v47, vcc, v24, v47
	v_addc_co_u32_e32 v48, vcc, v68, v48, vcc
.LBB0_19:
	s_or_b64 exec, exec, s[16:17]
	s_and_b64 vcc, exec, s[4:5]
	s_cbranch_vccnz .LBB0_21
	s_branch .LBB0_26
.LBB0_20:
	s_mov_b64 s[0:1], 0
                                        ; implicit-def: $vgpr47_vgpr48
	s_cbranch_execz .LBB0_26
.LBB0_21:
	v_cmp_gt_u64_e32 vcc, s[10:11], v[25:26]
                                        ; implicit-def: $vgpr47_vgpr48
	s_and_saveexec_b64 s[4:5], vcc
	s_cbranch_execz .LBB0_25
; %bb.22:
	v_mad_u64_u32 v[24:25], s[10:11], s12, v50, 0
	v_mad_u64_u32 v[47:48], s[10:11], s8, v49, 0
	;; [unrolled: 1-line block ×3, first 2 shown]
	s_lshl_b64 s[6:7], s[6:7], 3
	v_mov_b32_e32 v26, v48
	s_add_u32 s6, s14, s6
	v_lshlrev_b64 v[24:25], 3, v[24:25]
	s_waitcnt vmcnt(2)
	v_mad_u64_u32 v[48:49], s[10:11], s9, v49, v[26:27]
	s_addc_u32 s7, s15, s7
	v_mov_b32_e32 v26, s7
	v_add_co_u32_e32 v24, vcc, s6, v24
	v_mad_u64_u32 v[49:50], s[6:7], s8, v64, 0
	v_addc_co_u32_e32 v25, vcc, v26, v25, vcc
	v_mov_b32_e32 v26, v50
	v_mad_u64_u32 v[68:69], s[6:7], s9, v64, v[26:27]
	v_lshlrev_b64 v[47:48], 3, v[47:48]
	v_mad_u64_u32 v[69:70], s[6:7], s8, v65, 0
	v_add_co_u32_e32 v47, vcc, v24, v47
	v_addc_co_u32_e32 v48, vcc, v25, v48, vcc
	v_mov_b32_e32 v50, v68
	global_store_dwordx2 v[47:48], v[0:1], off
	v_lshlrev_b64 v[0:1], 3, v[49:50]
	v_mov_b32_e32 v26, v70
	v_add_co_u32_e32 v0, vcc, v24, v0
	v_addc_co_u32_e32 v1, vcc, v25, v1, vcc
	v_mad_u64_u32 v[47:48], s[6:7], s9, v65, v[26:27]
	global_store_dwordx2 v[0:1], v[2:3], off
	v_mad_u64_u32 v[2:3], s[6:7], s8, v66, 0
	v_mov_b32_e32 v70, v47
	v_lshlrev_b64 v[0:1], 3, v[69:70]
	v_mad_u64_u32 v[47:48], s[6:7], s9, v66, v[3:4]
	v_mad_u64_u32 v[48:49], s[6:7], s8, v67, 0
	v_add_co_u32_e32 v0, vcc, v24, v0
	v_addc_co_u32_e32 v1, vcc, v25, v1, vcc
	v_mov_b32_e32 v3, v47
	global_store_dwordx2 v[0:1], v[4:5], off
	v_lshlrev_b64 v[0:1], 3, v[2:3]
	v_mov_b32_e32 v2, v49
	v_mad_u64_u32 v[2:3], s[6:7], s9, v67, v[2:3]
	v_add_co_u32_e32 v0, vcc, v24, v0
	v_addc_co_u32_e32 v1, vcc, v25, v1, vcc
	v_mov_b32_e32 v49, v2
	v_and_b32_e32 v2, 0x1c0, v55
	global_store_dwordx2 v[0:1], v[6:7], off
	v_add_u32_e32 v6, v2, v52
	v_mad_u64_u32 v[2:3], s[6:7], s8, v6, 0
	v_add_u32_e32 v7, 16, v6
	v_lshlrev_b64 v[0:1], 3, v[48:49]
	v_mad_u64_u32 v[3:4], s[6:7], s9, v6, v[3:4]
	v_mad_u64_u32 v[4:5], s[6:7], s8, v7, 0
	v_add_co_u32_e32 v0, vcc, v24, v0
	v_addc_co_u32_e32 v1, vcc, v25, v1, vcc
	global_store_dwordx2 v[0:1], v[8:9], off
	v_lshlrev_b64 v[0:1], 3, v[2:3]
	v_mov_b32_e32 v2, v5
	v_mad_u64_u32 v[2:3], s[6:7], s9, v7, v[2:3]
	v_add_co_u32_e32 v0, vcc, v24, v0
	v_addc_co_u32_e32 v1, vcc, v25, v1, vcc
	v_mov_b32_e32 v5, v2
	global_store_dwordx2 v[0:1], v[10:11], off
	v_lshlrev_b64 v[0:1], 3, v[4:5]
	v_add_u32_e32 v4, 32, v6
	v_mad_u64_u32 v[2:3], s[6:7], s8, v4, 0
	v_add_u32_e32 v7, 48, v6
	v_add_co_u32_e32 v0, vcc, v24, v0
	v_mad_u64_u32 v[3:4], s[6:7], s9, v4, v[3:4]
	v_mad_u64_u32 v[4:5], s[6:7], s8, v7, 0
	v_addc_co_u32_e32 v1, vcc, v25, v1, vcc
	global_store_dwordx2 v[0:1], v[12:13], off
	v_lshlrev_b64 v[0:1], 3, v[2:3]
	v_mov_b32_e32 v2, v5
	v_mad_u64_u32 v[2:3], s[6:7], s9, v7, v[2:3]
	v_add_co_u32_e32 v0, vcc, v24, v0
	v_addc_co_u32_e32 v1, vcc, v25, v1, vcc
	v_mov_b32_e32 v5, v2
	global_store_dwordx2 v[0:1], v[14:15], off
	v_lshlrev_b64 v[0:1], 3, v[4:5]
	v_add_u32_e32 v4, 64, v6
	v_mad_u64_u32 v[2:3], s[6:7], s8, v4, 0
	v_add_co_u32_e32 v0, vcc, v24, v0
	v_mad_u64_u32 v[3:4], s[6:7], s9, v4, v[3:4]
	v_and_b32_e32 v4, 0x1c0, v54
	v_add_u32_e32 v6, v4, v51
	v_mad_u64_u32 v[4:5], s[6:7], s8, v6, 0
	v_addc_co_u32_e32 v1, vcc, v25, v1, vcc
	global_store_dwordx2 v[0:1], v[16:17], off
	v_lshlrev_b64 v[0:1], 3, v[2:3]
	v_mov_b32_e32 v2, v5
	v_mad_u64_u32 v[2:3], s[6:7], s9, v6, v[2:3]
	v_add_co_u32_e32 v0, vcc, v24, v0
	v_addc_co_u32_e32 v1, vcc, v25, v1, vcc
	v_mov_b32_e32 v5, v2
	global_store_dwordx2 v[0:1], v[18:19], off
	v_lshlrev_b64 v[0:1], 3, v[4:5]
	v_add_u32_e32 v4, 16, v6
	v_mad_u64_u32 v[2:3], s[6:7], s8, v4, 0
	v_add_u32_e32 v7, 32, v6
	v_add_co_u32_e32 v0, vcc, v24, v0
	v_mad_u64_u32 v[3:4], s[6:7], s9, v4, v[3:4]
	v_mad_u64_u32 v[4:5], s[6:7], s8, v7, 0
	v_addc_co_u32_e32 v1, vcc, v25, v1, vcc
	global_store_dwordx2 v[0:1], v[20:21], off
	v_lshlrev_b64 v[0:1], 3, v[2:3]
	v_mov_b32_e32 v2, v5
	v_mad_u64_u32 v[2:3], s[6:7], s9, v7, v[2:3]
	v_add_co_u32_e32 v0, vcc, v24, v0
	v_addc_co_u32_e32 v1, vcc, v25, v1, vcc
	v_mov_b32_e32 v5, v2
	global_store_dwordx2 v[0:1], v[22:23], off
	v_lshlrev_b64 v[0:1], 3, v[4:5]
	v_add_u32_e32 v4, 48, v6
	v_mad_u64_u32 v[2:3], s[6:7], s8, v4, 0
	v_add_u32_e32 v6, 64, v6
	v_add_co_u32_e32 v0, vcc, v24, v0
	v_mad_u64_u32 v[3:4], s[6:7], s9, v4, v[3:4]
	v_mad_u64_u32 v[4:5], s[6:7], s8, v6, 0
	v_addc_co_u32_e32 v1, vcc, v25, v1, vcc
	global_store_dwordx2 v[0:1], v[31:32], off
	v_lshlrev_b64 v[0:1], 3, v[2:3]
	v_mov_b32_e32 v2, v5
	v_mad_u64_u32 v[2:3], s[6:7], s9, v6, v[2:3]
	v_add_co_u32_e32 v0, vcc, v24, v0
	v_addc_co_u32_e32 v1, vcc, v25, v1, vcc
	v_mov_b32_e32 v5, v2
	global_store_dwordx2 v[0:1], v[33:34], off
	v_lshlrev_b64 v[0:1], 3, v[4:5]
	s_mov_b64 s[10:11], s[0:1]
	v_add_co_u32_e32 v0, vcc, v24, v0
	v_addc_co_u32_e32 v1, vcc, v25, v1, vcc
	global_store_dwordx2 v[0:1], v[29:30], off
                                        ; implicit-def: $vgpr47_vgpr48
	s_and_saveexec_b64 s[6:7], s[2:3]
	s_cbranch_execz .LBB0_24
; %bb.23:
	v_mov_b32_e32 v0, 0x78
	v_mad_u64_u32 v[0:1], s[2:3], s8, v0, v[24:25]
	s_mul_i32 s2, s9, 0x78
	v_mov_b32_e32 v2, 0xf8
	v_add_u32_e32 v1, s2, v1
	global_store_dwordx2 v[0:1], v[35:36], off
	v_mad_u64_u32 v[0:1], s[2:3], s8, v2, v[24:25]
	v_mov_b32_e32 v2, 0x178
	v_mad_u64_u32 v[2:3], s[2:3], s8, v2, v[24:25]
	s_mul_i32 s10, s9, 0xf8
	s_mul_i32 s2, s9, 0x178
	v_add_u32_e32 v1, s10, v1
	v_add_u32_e32 v3, s2, v3
	global_store_dwordx2 v[0:1], v[37:38], off
	global_store_dwordx2 v[2:3], v[39:40], off
	v_mov_b32_e32 v0, 0x1f8
	v_mov_b32_e32 v2, 0x278
	v_mad_u64_u32 v[0:1], s[2:3], s8, v0, v[24:25]
	v_mad_u64_u32 v[47:48], s[2:3], s8, v2, v[24:25]
	s_mul_i32 s10, s9, 0x1f8
	s_mul_i32 s2, s9, 0x278
	v_add_u32_e32 v1, s10, v1
	v_add_u32_e32 v48, s2, v48
	s_or_b64 s[10:11], s[0:1], exec
	global_store_dwordx2 v[0:1], v[41:42], off
.LBB0_24:
	s_or_b64 exec, exec, s[6:7]
	s_andn2_b64 s[0:1], s[0:1], exec
	s_and_b64 s[2:3], s[10:11], exec
	s_or_b64 s[0:1], s[0:1], s[2:3]
.LBB0_25:
	s_or_b64 exec, exec, s[4:5]
.LBB0_26:
	s_and_saveexec_b64 s[2:3], s[0:1]
	s_cbranch_execnz .LBB0_28
; %bb.27:
	s_endpgm
.LBB0_28:
	v_mul_f32_e32 v0, 0x3f737871, v57
	v_mul_f32_e32 v1, 0x3f167918, v58
	v_sub_f32_e32 v0, v56, v0
	v_mul_f32_e32 v2, 0x3e9e377a, v59
	v_mul_f32_e32 v3, 0x3f737871, v61
	v_sub_f32_e32 v0, v0, v1
	v_mul_f32_e32 v4, 0x3f167918, v62
	v_add_f32_e32 v1, v2, v0
	v_add_f32_e32 v0, v60, v3
	v_mul_f32_e32 v5, 0x3e9e377a, v63
	v_add_f32_e32 v0, v4, v0
	v_add_f32_e32 v2, v5, v0
	s_waitcnt vmcnt(1)
	v_mul_f32_e32 v0, v28, v44
	v_fma_f32 v0, v27, v43, -v0
	v_mul_f32_e32 v3, v27, v44
	v_fmac_f32_e32 v3, v28, v43
	s_waitcnt vmcnt(0)
	v_mul_f32_e32 v5, v0, v46
	v_mul_f32_e32 v4, v3, v46
	v_fmac_f32_e32 v5, v45, v3
	v_fma_f32 v4, v45, v0, -v4
	v_mul_f32_e32 v0, v2, v5
	v_fma_f32 v0, v1, v4, -v0
	v_mul_f32_e32 v1, v1, v5
	v_fmac_f32_e32 v1, v2, v4
	global_store_dwordx2 v[47:48], v[0:1], off
	s_endpgm
	.section	.rodata,"a",@progbits
	.p2align	6, 0x0
	.amdhsa_kernel fft_rtc_fwd_len80_factors_2_2_4_5_wgs_125_tpt_5_dim3_sp_ip_CI_sbcc_twdbase8_3step_dirReg
		.amdhsa_group_segment_fixed_size 0
		.amdhsa_private_segment_fixed_size 0
		.amdhsa_kernarg_size 88
		.amdhsa_user_sgpr_count 6
		.amdhsa_user_sgpr_private_segment_buffer 1
		.amdhsa_user_sgpr_dispatch_ptr 0
		.amdhsa_user_sgpr_queue_ptr 0
		.amdhsa_user_sgpr_kernarg_segment_ptr 1
		.amdhsa_user_sgpr_dispatch_id 0
		.amdhsa_user_sgpr_flat_scratch_init 0
		.amdhsa_user_sgpr_private_segment_size 0
		.amdhsa_uses_dynamic_stack 0
		.amdhsa_system_sgpr_private_segment_wavefront_offset 0
		.amdhsa_system_sgpr_workgroup_id_x 1
		.amdhsa_system_sgpr_workgroup_id_y 0
		.amdhsa_system_sgpr_workgroup_id_z 0
		.amdhsa_system_sgpr_workgroup_info 0
		.amdhsa_system_vgpr_workitem_id 0
		.amdhsa_next_free_vgpr 82
		.amdhsa_next_free_sgpr 26
		.amdhsa_reserve_vcc 1
		.amdhsa_reserve_flat_scratch 0
		.amdhsa_float_round_mode_32 0
		.amdhsa_float_round_mode_16_64 0
		.amdhsa_float_denorm_mode_32 3
		.amdhsa_float_denorm_mode_16_64 3
		.amdhsa_dx10_clamp 1
		.amdhsa_ieee_mode 1
		.amdhsa_fp16_overflow 0
		.amdhsa_exception_fp_ieee_invalid_op 0
		.amdhsa_exception_fp_denorm_src 0
		.amdhsa_exception_fp_ieee_div_zero 0
		.amdhsa_exception_fp_ieee_overflow 0
		.amdhsa_exception_fp_ieee_underflow 0
		.amdhsa_exception_fp_ieee_inexact 0
		.amdhsa_exception_int_div_zero 0
	.end_amdhsa_kernel
	.text
.Lfunc_end0:
	.size	fft_rtc_fwd_len80_factors_2_2_4_5_wgs_125_tpt_5_dim3_sp_ip_CI_sbcc_twdbase8_3step_dirReg, .Lfunc_end0-fft_rtc_fwd_len80_factors_2_2_4_5_wgs_125_tpt_5_dim3_sp_ip_CI_sbcc_twdbase8_3step_dirReg
                                        ; -- End function
	.section	.AMDGPU.csdata,"",@progbits
; Kernel info:
; codeLenInByte = 12232
; NumSgprs: 30
; NumVgprs: 82
; ScratchSize: 0
; MemoryBound: 0
; FloatMode: 240
; IeeeMode: 1
; LDSByteSize: 0 bytes/workgroup (compile time only)
; SGPRBlocks: 3
; VGPRBlocks: 20
; NumSGPRsForWavesPerEU: 30
; NumVGPRsForWavesPerEU: 82
; Occupancy: 3
; WaveLimiterHint : 1
; COMPUTE_PGM_RSRC2:SCRATCH_EN: 0
; COMPUTE_PGM_RSRC2:USER_SGPR: 6
; COMPUTE_PGM_RSRC2:TRAP_HANDLER: 0
; COMPUTE_PGM_RSRC2:TGID_X_EN: 1
; COMPUTE_PGM_RSRC2:TGID_Y_EN: 0
; COMPUTE_PGM_RSRC2:TGID_Z_EN: 0
; COMPUTE_PGM_RSRC2:TIDIG_COMP_CNT: 0
	.type	__hip_cuid_eb745c9e88723cc,@object ; @__hip_cuid_eb745c9e88723cc
	.section	.bss,"aw",@nobits
	.globl	__hip_cuid_eb745c9e88723cc
__hip_cuid_eb745c9e88723cc:
	.byte	0                               ; 0x0
	.size	__hip_cuid_eb745c9e88723cc, 1

	.ident	"AMD clang version 19.0.0git (https://github.com/RadeonOpenCompute/llvm-project roc-6.4.0 25133 c7fe45cf4b819c5991fe208aaa96edf142730f1d)"
	.section	".note.GNU-stack","",@progbits
	.addrsig
	.addrsig_sym __hip_cuid_eb745c9e88723cc
	.amdgpu_metadata
---
amdhsa.kernels:
  - .args:
      - .actual_access:  read_only
        .address_space:  global
        .offset:         0
        .size:           8
        .value_kind:     global_buffer
      - .address_space:  global
        .offset:         8
        .size:           8
        .value_kind:     global_buffer
      - .actual_access:  read_only
        .address_space:  global
        .offset:         16
        .size:           8
        .value_kind:     global_buffer
      - .actual_access:  read_only
        .address_space:  global
        .offset:         24
        .size:           8
        .value_kind:     global_buffer
      - .offset:         32
        .size:           8
        .value_kind:     by_value
      - .actual_access:  read_only
        .address_space:  global
        .offset:         40
        .size:           8
        .value_kind:     global_buffer
      - .actual_access:  read_only
        .address_space:  global
        .offset:         48
        .size:           8
        .value_kind:     global_buffer
      - .offset:         56
        .size:           4
        .value_kind:     by_value
      - .actual_access:  read_only
        .address_space:  global
        .offset:         64
        .size:           8
        .value_kind:     global_buffer
      - .actual_access:  read_only
        .address_space:  global
        .offset:         72
        .size:           8
        .value_kind:     global_buffer
      - .address_space:  global
        .offset:         80
        .size:           8
        .value_kind:     global_buffer
    .group_segment_fixed_size: 0
    .kernarg_segment_align: 8
    .kernarg_segment_size: 88
    .language:       OpenCL C
    .language_version:
      - 2
      - 0
    .max_flat_workgroup_size: 125
    .name:           fft_rtc_fwd_len80_factors_2_2_4_5_wgs_125_tpt_5_dim3_sp_ip_CI_sbcc_twdbase8_3step_dirReg
    .private_segment_fixed_size: 0
    .sgpr_count:     30
    .sgpr_spill_count: 0
    .symbol:         fft_rtc_fwd_len80_factors_2_2_4_5_wgs_125_tpt_5_dim3_sp_ip_CI_sbcc_twdbase8_3step_dirReg.kd
    .uniform_work_group_size: 1
    .uses_dynamic_stack: false
    .vgpr_count:     82
    .vgpr_spill_count: 0
    .wavefront_size: 64
amdhsa.target:   amdgcn-amd-amdhsa--gfx906
amdhsa.version:
  - 1
  - 2
...

	.end_amdgpu_metadata
